;; amdgpu-corpus repo=zjin-lcf/HeCBench kind=compiled arch=gfx950 opt=O3
	.amdgcn_target "amdgcn-amd-amdhsa--gfx950"
	.amdhsa_code_object_version 6
	.text
	.protected	_Z6init_xPfii           ; -- Begin function _Z6init_xPfii
	.globl	_Z6init_xPfii
	.p2align	8
	.type	_Z6init_xPfii,@function
_Z6init_xPfii:                          ; @_Z6init_xPfii
; %bb.0:
	s_load_dword s3, s[0:1], 0x1c
	s_load_dwordx2 s[4:5], s[0:1], 0x8
	s_waitcnt lgkmcnt(0)
	s_and_b32 s3, s3, 0xffff
	s_mul_i32 s2, s2, s3
	v_add_u32_e32 v0, s2, v0
	s_mul_i32 s2, s5, s4
	v_cmp_gt_i32_e32 vcc, s2, v0
	s_and_saveexec_b64 s[2:3], vcc
	s_cbranch_execz .LBB0_2
; %bb.1:
	s_abs_i32 s2, s5
	v_cvt_f32_u32_e32 v1, s2
	s_sub_i32 s3, 0, s2
	v_sub_u32_e32 v3, 0, v0
	v_max_i32_e32 v3, v0, v3
	v_rcp_iflag_f32_e32 v2, v1
	v_ashrrev_i32_e32 v1, 31, v0
	s_load_dwordx2 s[0:1], s[0:1], 0x0
	v_mul_f32_e32 v2, 0x4f7ffffe, v2
	v_cvt_u32_f32_e32 v2, v2
	v_mul_lo_u32 v4, s3, v2
	v_mul_hi_u32 v4, v2, v4
	v_add_u32_e32 v2, v2, v4
	v_mul_hi_u32 v2, v3, v2
	v_mul_lo_u32 v2, v2, s2
	v_sub_u32_e32 v2, v3, v2
	v_subrev_u32_e32 v3, s2, v2
	v_cmp_le_u32_e32 vcc, s2, v2
	s_nop 1
	v_cndmask_b32_e32 v2, v2, v3, vcc
	v_subrev_u32_e32 v3, s2, v2
	v_cmp_le_u32_e32 vcc, s2, v2
	s_nop 1
	v_cndmask_b32_e32 v2, v2, v3, vcc
	v_xor_b32_e32 v2, v2, v1
	v_sub_u32_e32 v2, v2, v1
	v_cvt_f32_i32_e32 v2, v2
	s_waitcnt lgkmcnt(0)
	v_lshl_add_u64 v[0:1], v[0:1], 2, s[0:1]
	global_store_dword v[0:1], v2, off
.LBB0_2:
	s_endpgm
	.section	.rodata,"a",@progbits
	.p2align	6, 0x0
	.amdhsa_kernel _Z6init_xPfii
		.amdhsa_group_segment_fixed_size 0
		.amdhsa_private_segment_fixed_size 0
		.amdhsa_kernarg_size 272
		.amdhsa_user_sgpr_count 2
		.amdhsa_user_sgpr_dispatch_ptr 0
		.amdhsa_user_sgpr_queue_ptr 0
		.amdhsa_user_sgpr_kernarg_segment_ptr 1
		.amdhsa_user_sgpr_dispatch_id 0
		.amdhsa_user_sgpr_kernarg_preload_length 0
		.amdhsa_user_sgpr_kernarg_preload_offset 0
		.amdhsa_user_sgpr_private_segment_size 0
		.amdhsa_uses_dynamic_stack 0
		.amdhsa_enable_private_segment 0
		.amdhsa_system_sgpr_workgroup_id_x 1
		.amdhsa_system_sgpr_workgroup_id_y 0
		.amdhsa_system_sgpr_workgroup_id_z 0
		.amdhsa_system_sgpr_workgroup_info 0
		.amdhsa_system_vgpr_workitem_id 0
		.amdhsa_next_free_vgpr 5
		.amdhsa_next_free_sgpr 6
		.amdhsa_accum_offset 8
		.amdhsa_reserve_vcc 1
		.amdhsa_float_round_mode_32 0
		.amdhsa_float_round_mode_16_64 0
		.amdhsa_float_denorm_mode_32 3
		.amdhsa_float_denorm_mode_16_64 3
		.amdhsa_dx10_clamp 1
		.amdhsa_ieee_mode 1
		.amdhsa_fp16_overflow 0
		.amdhsa_tg_split 0
		.amdhsa_exception_fp_ieee_invalid_op 0
		.amdhsa_exception_fp_denorm_src 0
		.amdhsa_exception_fp_ieee_div_zero 0
		.amdhsa_exception_fp_ieee_overflow 0
		.amdhsa_exception_fp_ieee_underflow 0
		.amdhsa_exception_fp_ieee_inexact 0
		.amdhsa_exception_int_div_zero 0
	.end_amdhsa_kernel
	.text
.Lfunc_end0:
	.size	_Z6init_xPfii, .Lfunc_end0-_Z6init_xPfii
                                        ; -- End function
	.set _Z6init_xPfii.num_vgpr, 5
	.set _Z6init_xPfii.num_agpr, 0
	.set _Z6init_xPfii.numbered_sgpr, 6
	.set _Z6init_xPfii.num_named_barrier, 0
	.set _Z6init_xPfii.private_seg_size, 0
	.set _Z6init_xPfii.uses_vcc, 1
	.set _Z6init_xPfii.uses_flat_scratch, 0
	.set _Z6init_xPfii.has_dyn_sized_stack, 0
	.set _Z6init_xPfii.has_recursion, 0
	.set _Z6init_xPfii.has_indirect_call, 0
	.section	.AMDGPU.csdata,"",@progbits
; Kernel info:
; codeLenInByte = 208
; TotalNumSgprs: 12
; NumVgprs: 5
; NumAgprs: 0
; TotalNumVgprs: 5
; ScratchSize: 0
; MemoryBound: 0
; FloatMode: 240
; IeeeMode: 1
; LDSByteSize: 0 bytes/workgroup (compile time only)
; SGPRBlocks: 1
; VGPRBlocks: 0
; NumSGPRsForWavesPerEU: 12
; NumVGPRsForWavesPerEU: 5
; AccumOffset: 8
; Occupancy: 8
; WaveLimiterHint : 0
; COMPUTE_PGM_RSRC2:SCRATCH_EN: 0
; COMPUTE_PGM_RSRC2:USER_SGPR: 2
; COMPUTE_PGM_RSRC2:TRAP_HANDLER: 0
; COMPUTE_PGM_RSRC2:TGID_X_EN: 1
; COMPUTE_PGM_RSRC2:TGID_Y_EN: 0
; COMPUTE_PGM_RSRC2:TGID_Z_EN: 0
; COMPUTE_PGM_RSRC2:TIDIG_COMP_CNT: 0
; COMPUTE_PGM_RSRC3_GFX90A:ACCUM_OFFSET: 1
; COMPUTE_PGM_RSRC3_GFX90A:TG_SPLIT: 0
	.text
	.protected	_Z12shuffle_rowsPfiij   ; -- Begin function _Z12shuffle_rowsPfiij
	.globl	_Z12shuffle_rowsPfiij
	.p2align	8
	.type	_Z12shuffle_rowsPfiij,@function
_Z12shuffle_rowsPfiij:                  ; @_Z12shuffle_rowsPfiij
; %bb.0:
	s_load_dwordx4 s[4:7], s[0:1], 0x8
	s_waitcnt lgkmcnt(0)
	s_cmp_ge_i32 s2, s4
	s_cbranch_scc1 .LBB1_4
; %bb.1:
	s_cmp_lt_i32 s5, 2
	s_cbranch_scc1 .LBB1_4
; %bb.2:
	s_load_dwordx2 s[10:11], s[0:1], 0x0
	s_mul_i32 s0, s5, s2
	s_ashr_i32 s1, s0, 31
	s_lshl_b64 s[12:13], s[0:1], 2
	s_mov_b32 s1, 0
	s_waitcnt lgkmcnt(0)
	s_add_u32 s4, s10, s12
	s_addc_u32 s7, s11, s13
	s_add_i32 s0, s5, -1
	s_xor_b32 s8, s6, s2
	s_sub_i32 s6, 0, s5
	s_lshl_b64 s[2:3], s[0:1], 2
	s_add_u32 s0, s12, s2
	s_addc_u32 s3, s13, s3
	s_add_u32 s2, s10, s0
	s_addc_u32 s3, s11, s3
	v_mov_b32_e32 v0, 0
.LBB1_3:                                ; =>This Inner Loop Header: Depth=1
	v_cvt_f32_u32_e32 v1, s5
	s_lshl_b32 s0, s8, 13
	s_xor_b32 s0, s0, s8
	s_lshr_b32 s8, s0, 17
	v_rcp_iflag_f32_e32 v1, v1
	s_xor_b32 s0, s8, s0
	s_lshl_b32 s8, s0, 5
	s_xor_b32 s8, s8, s0
	v_mul_f32_e32 v1, 0x4f7ffffe, v1
	v_cvt_u32_f32_e32 v1, v1
	s_add_i32 s9, s5, -1
	v_readfirstlane_b32 s0, v1
	s_mul_i32 s10, s6, s0
	s_mul_hi_u32 s10, s0, s10
	s_add_i32 s0, s0, s10
	s_mul_hi_u32 s0, s8, s0
	s_mul_i32 s0, s0, s5
	s_sub_i32 s0, s8, s0
	s_sub_i32 s10, s0, s5
	s_cmp_ge_u32 s0, s5
	s_cselect_b32 s0, s10, s0
	s_add_i32 s10, s0, s6
	s_cmp_ge_u32 s0, s5
	s_cselect_b32 s0, s10, s0
	s_lshl_b64 s[10:11], s[0:1], 2
	s_add_u32 s10, s4, s10
	s_addc_u32 s11, s7, s11
	global_load_dword v1, v0, s[10:11]
	global_load_dword v2, v0, s[2:3]
	s_add_i32 s6, s6, 1
	s_waitcnt vmcnt(1)
	global_store_dword v0, v1, s[2:3]
	s_waitcnt vmcnt(1)
	global_store_dword v0, v2, s[10:11]
	s_add_u32 s2, s2, -4
	s_addc_u32 s3, s3, -1
	s_cmp_gt_u32 s5, 2
	s_mov_b32 s5, s9
	s_cbranch_scc1 .LBB1_3
.LBB1_4:
	s_endpgm
	.section	.rodata,"a",@progbits
	.p2align	6, 0x0
	.amdhsa_kernel _Z12shuffle_rowsPfiij
		.amdhsa_group_segment_fixed_size 0
		.amdhsa_private_segment_fixed_size 0
		.amdhsa_kernarg_size 20
		.amdhsa_user_sgpr_count 2
		.amdhsa_user_sgpr_dispatch_ptr 0
		.amdhsa_user_sgpr_queue_ptr 0
		.amdhsa_user_sgpr_kernarg_segment_ptr 1
		.amdhsa_user_sgpr_dispatch_id 0
		.amdhsa_user_sgpr_kernarg_preload_length 0
		.amdhsa_user_sgpr_kernarg_preload_offset 0
		.amdhsa_user_sgpr_private_segment_size 0
		.amdhsa_uses_dynamic_stack 0
		.amdhsa_enable_private_segment 0
		.amdhsa_system_sgpr_workgroup_id_x 1
		.amdhsa_system_sgpr_workgroup_id_y 0
		.amdhsa_system_sgpr_workgroup_id_z 0
		.amdhsa_system_sgpr_workgroup_info 0
		.amdhsa_system_vgpr_workitem_id 0
		.amdhsa_next_free_vgpr 3
		.amdhsa_next_free_sgpr 14
		.amdhsa_accum_offset 4
		.amdhsa_reserve_vcc 0
		.amdhsa_float_round_mode_32 0
		.amdhsa_float_round_mode_16_64 0
		.amdhsa_float_denorm_mode_32 3
		.amdhsa_float_denorm_mode_16_64 3
		.amdhsa_dx10_clamp 1
		.amdhsa_ieee_mode 1
		.amdhsa_fp16_overflow 0
		.amdhsa_tg_split 0
		.amdhsa_exception_fp_ieee_invalid_op 0
		.amdhsa_exception_fp_denorm_src 0
		.amdhsa_exception_fp_ieee_div_zero 0
		.amdhsa_exception_fp_ieee_overflow 0
		.amdhsa_exception_fp_ieee_underflow 0
		.amdhsa_exception_fp_ieee_inexact 0
		.amdhsa_exception_int_div_zero 0
	.end_amdhsa_kernel
	.text
.Lfunc_end1:
	.size	_Z12shuffle_rowsPfiij, .Lfunc_end1-_Z12shuffle_rowsPfiij
                                        ; -- End function
	.set _Z12shuffle_rowsPfiij.num_vgpr, 3
	.set _Z12shuffle_rowsPfiij.num_agpr, 0
	.set _Z12shuffle_rowsPfiij.numbered_sgpr, 14
	.set _Z12shuffle_rowsPfiij.num_named_barrier, 0
	.set _Z12shuffle_rowsPfiij.private_seg_size, 0
	.set _Z12shuffle_rowsPfiij.uses_vcc, 0
	.set _Z12shuffle_rowsPfiij.uses_flat_scratch, 0
	.set _Z12shuffle_rowsPfiij.has_dyn_sized_stack, 0
	.set _Z12shuffle_rowsPfiij.has_recursion, 0
	.set _Z12shuffle_rowsPfiij.has_indirect_call, 0
	.section	.AMDGPU.csdata,"",@progbits
; Kernel info:
; codeLenInByte = 280
; TotalNumSgprs: 20
; NumVgprs: 3
; NumAgprs: 0
; TotalNumVgprs: 3
; ScratchSize: 0
; MemoryBound: 0
; FloatMode: 240
; IeeeMode: 1
; LDSByteSize: 0 bytes/workgroup (compile time only)
; SGPRBlocks: 2
; VGPRBlocks: 0
; NumSGPRsForWavesPerEU: 20
; NumVGPRsForWavesPerEU: 3
; AccumOffset: 4
; Occupancy: 8
; WaveLimiterHint : 0
; COMPUTE_PGM_RSRC2:SCRATCH_EN: 0
; COMPUTE_PGM_RSRC2:USER_SGPR: 2
; COMPUTE_PGM_RSRC2:TRAP_HANDLER: 0
; COMPUTE_PGM_RSRC2:TGID_X_EN: 1
; COMPUTE_PGM_RSRC2:TGID_Y_EN: 0
; COMPUTE_PGM_RSRC2:TGID_Z_EN: 0
; COMPUTE_PGM_RSRC2:TIDIG_COMP_CNT: 0
; COMPUTE_PGM_RSRC3_GFX90A:ACCUM_OFFSET: 0
; COMPUTE_PGM_RSRC3_GFX90A:TG_SPLIT: 0
	.section	.text._Z27radix_topk_one_block_kernelIfiLi11ELi1024ELb1ELb0EL5Phase0EEvPKT_PKT0_lS6_S6_S4_PS1_PS4_bPci,"axG",@progbits,_Z27radix_topk_one_block_kernelIfiLi11ELi1024ELb1ELb0EL5Phase0EEvPKT_PKT0_lS6_S6_S4_PS1_PS4_bPci,comdat
	.protected	_Z27radix_topk_one_block_kernelIfiLi11ELi1024ELb1ELb0EL5Phase0EEvPKT_PKT0_lS6_S6_S4_PS1_PS4_bPci ; -- Begin function _Z27radix_topk_one_block_kernelIfiLi11ELi1024ELb1ELb0EL5Phase0EEvPKT_PKT0_lS6_S6_S4_PS1_PS4_bPci
	.globl	_Z27radix_topk_one_block_kernelIfiLi11ELi1024ELb1ELb0EL5Phase0EEvPKT_PKT0_lS6_S6_S4_PS1_PS4_bPci
	.p2align	8
	.type	_Z27radix_topk_one_block_kernelIfiLi11ELi1024ELb1ELb0EL5Phase0EEvPKT_PKT0_lS6_S6_S4_PS1_PS4_bPci,@function
_Z27radix_topk_one_block_kernelIfiLi11ELi1024ELb1ELb0EL5Phase0EEvPKT_PKT0_lS6_S6_S4_PS1_PS4_bPci: ; @_Z27radix_topk_one_block_kernelIfiLi11ELi1024ELb1ELb0EL5Phase0EEvPKT_PKT0_lS6_S6_S4_PS1_PS4_bPci
; %bb.0:
	s_load_dwordx8 s[4:11], s[0:1], 0x0
	s_load_dwordx2 s[12:13], s[0:1], 0x20
	s_mov_b32 s3, 0
	s_waitcnt lgkmcnt(0)
	s_cmp_eq_u64 s[10:11], 0
	s_cselect_b64 s[14:15], -1, 0
	s_cmp_eq_u64 s[12:13], 0
	s_cselect_b64 s[16:17], -1, 0
	s_or_b64 s[14:15], s[14:15], s[16:17]
	s_and_b64 vcc, exec, s[14:15]
	s_mov_b32 s14, s8
	s_cbranch_vccnz .LBB2_2
; %bb.1:
	s_lshl_b64 s[14:15], s[2:3], 2
	s_add_u32 s12, s12, s14
	s_addc_u32 s13, s13, s15
	s_add_u32 s10, s10, s14
	s_addc_u32 s11, s11, s15
	s_load_dword s3, s[10:11], 0x0
	s_load_dword s14, s[12:13], 0x0
.LBB2_2:
	s_load_dword s33, s[0:1], 0x28
	s_waitcnt lgkmcnt(0)
	s_sub_i32 s61, s14, s3
	v_cmp_ne_u32_e64 s[14:15], 0, v0
	v_cmp_eq_u32_e64 s[12:13], 0, v0
	s_and_saveexec_b64 s[10:11], s[12:13]
	s_cbranch_execz .LBB2_4
; %bb.3:
	v_mov_b32_e32 v5, 0
	v_mov_b32_e32 v2, s33
	;; [unrolled: 1-line block ×4, first 2 shown]
	ds_write_b128 v5, v[2:5]
	ds_write2_b32 v5, v5, v5 offset0:96 offset1:128
.LBB2_4:
	s_or_b64 exec, exec, s[10:11]
	s_mul_i32 s9, s9, s2
	s_mul_hi_u32 s10, s8, s2
	s_add_i32 s11, s10, s9
	s_mul_i32 s10, s8, s2
	s_lshl_b64 s[10:11], s[10:11], 2
	s_load_dwordx4 s[16:19], s[0:1], 0x30
	s_add_u32 s20, s4, s10
	s_addc_u32 s21, s5, s11
	s_ashr_i32 s4, s33, 31
	s_mul_hi_u32 s5, s33, s2
	s_mul_i32 s4, s4, s2
	s_add_i32 s5, s5, s4
	s_mul_i32 s4, s33, s2
	s_cmp_gt_i32 s61, s33
	s_mov_b64 s[22:23], -1
	s_waitcnt lgkmcnt(0)
	s_barrier
	s_cbranch_scc1 .LBB2_11
; %bb.5:
	v_cmp_gt_i32_e32 vcc, s33, v0
	s_and_saveexec_b64 s[22:23], vcc
	s_cbranch_execz .LBB2_10
; %bb.6:
	v_lshlrev_b32_e32 v2, 2, v0
	v_mov_b32_e32 v3, 0
	v_lshl_add_u64 v[4:5], s[4:5], 2, v[2:3]
	v_lshl_add_u64 v[2:3], s[18:19], 0, v[4:5]
	;; [unrolled: 1-line block ×3, first 2 shown]
	s_mov_b64 s[24:25], 0
	s_mov_b64 s[26:27], 0x1000
	v_mov_b32_e32 v1, v0
	s_branch .LBB2_8
.LBB2_7:                                ;   in Loop: Header=BB2_8 Depth=1
	s_or_b64 exec, exec, s[28:29]
	v_add_u32_e32 v1, 0x400, v1
	v_cmp_le_i32_e32 vcc, s33, v1
	s_waitcnt vmcnt(0)
	global_store_dword v[4:5], v7, off
	v_lshl_add_u64 v[2:3], v[2:3], 0, s[26:27]
	s_or_b64 s[24:25], vcc, s[24:25]
	v_lshl_add_u64 v[4:5], v[4:5], 0, s[26:27]
	s_andn2_b64 exec, exec, s[24:25]
	s_cbranch_execz .LBB2_10
.LBB2_8:                                ; =>This Inner Loop Header: Depth=1
	v_add_u32_e32 v6, s3, v1
	v_cmp_gt_i32_e32 vcc, s61, v1
	s_nop 1
	v_cndmask_b32_e32 v7, -1, v6, vcc
	global_store_dword v[2:3], v7, off
	v_mov_b32_e32 v7, 0
	s_and_saveexec_b64 s[28:29], vcc
	s_cbranch_execz .LBB2_7
; %bb.9:                                ;   in Loop: Header=BB2_8 Depth=1
	v_ashrrev_i32_e32 v7, 31, v6
	v_lshl_add_u64 v[6:7], v[6:7], 2, s[20:21]
	global_load_dword v7, v[6:7], off
	s_branch .LBB2_7
.LBB2_10:
	s_or_b64 exec, exec, s[22:23]
	s_mov_b64 s[22:23], 0
.LBB2_11:
	s_andn2_b64 vcc, exec, s[22:23]
	s_cbranch_vccnz .LBB2_221
; %bb.12:
	s_lshl_b64 s[4:5], s[4:5], 2
	s_add_u32 s16, s16, s4
	s_addc_u32 s17, s17, s5
	s_add_u32 s18, s18, s4
	s_addc_u32 s19, s19, s5
	;; [unrolled: 2-line block ×3, first 2 shown]
	s_cmp_lg_u64 s[6:7], 0
	s_cselect_b32 s23, s4, 0
	s_load_dwordx2 s[4:5], s[0:1], 0x48
	s_load_dword s6, s[0:1], 0x64
	s_mov_b64 s[28:29], src_shared_base
	s_cselect_b32 s22, s3, 0
	s_lshr_b32 s3, s8, 5
	s_and_b32 s28, s3, 0x7ffffc0
	s_mul_hi_u32 s3, s2, s28
	s_mul_i32 s2, s2, s28
	s_lshl_b64 s[0:1], s[2:3], 4
	s_waitcnt lgkmcnt(0)
	s_add_u32 s34, s4, s0
	s_addc_u32 s35, s5, s1
	s_and_b32 s60, s6, 0xffff
	v_lshrrev_b32_e32 v1, 3, v0
	s_cmp_eq_u32 s60, 1
	v_and_b32_e32 v1, 0x7c, v1
	v_lshlrev_b32_e32 v9, 2, v0
	s_movk_i32 s2, 0x4280
	s_cselect_b64 s[0:1], -1, 0
	v_add3_u32 v10, v9, v1, s2
	v_or_b32_e32 v1, 0x400, v0
	s_lshl_b32 s3, s28, 3
	v_add_u32_e32 v5, -1, v0
	v_lshrrev_b32_e32 v1, 3, v1
	s_add_u32 s36, s34, s3
	v_lshrrev_b32_e32 v6, 3, v5
	v_and_b32_e32 v1, 0xfc, v1
	s_addc_u32 s37, s35, 0
	s_lshl_b32 s3, s28, 2
	v_and_b32_e32 v6, 0x1ffffffc, v6
	v_lshlrev_b32_e32 v5, 2, v5
	v_add3_u32 v11, v1, v9, s2
	v_lshrrev_b32_e32 v1, 4, v0
	v_mov_b32_e32 v2, 0x4280
	s_sub_u32 s6, 0, s3
	v_mov_b32_e32 v4, 0x6380
	v_add3_u32 v14, v6, v5, s2
	v_sub_u32_e32 v6, 0xffe, v0
	v_lshl_add_u32 v2, v1, 2, v2
	s_subb_u32 s7, 0, 0
	v_and_or_b32 v13, v1, 60, v4
	v_lshlrev_b32_e32 v1, 1, v0
	v_sub_u32_e32 v5, 0x1000, v0
	v_lshrrev_b32_e32 v6, 1, v6
	s_add_u32 s38, s36, s6
	v_and_b32_e32 v1, 0x7fc, v1
	v_add_u32_e32 v6, 1, v6
	v_and_b32_e32 v7, 0x1ffe, v5
	s_addc_u32 s39, s37, s7
	v_add_u32_e32 v1, 0x4280, v1
	v_lshlrev_b32_e32 v4, 6, v0
	v_cmp_ne_u32_e64 s[8:9], v5, v7
	v_lshlrev_b32_e32 v5, 1, v6
	v_lshlrev_b32_e32 v3, 3, v0
	s_add_u32 s40, s36, s3
	v_add_u32_e32 v15, v0, v7
	v_and_b32_e32 v8, 7, v6
	v_and_b32_e32 v17, 0x1ff0, v5
	v_cndmask_b32_e64 v5, 0, 1, s[0:1]
	v_add_u32_e32 v24, v1, v4
	v_mbcnt_lo_u32_b32 v1, -1, 0
	s_mov_b32 s31, 0
	v_cmp_gt_u32_e64 s[4:5], 64, v0
	s_addc_u32 s41, s37, 0
	v_mov_b32_e32 v12, 0
	v_cmp_ne_u32_e64 s[6:7], 0, v8
	v_add_u32_e32 v16, 0x280, v9
	v_lshlrev_b32_e32 v18, 3, v8
	s_lshl_b32 s64, s60, 2
	v_add_u32_e32 v19, 0x27c, v9
	v_lshlrev_b32_e32 v20, 2, v15
	s_movk_i32 s65, 0xfff
	v_bfrev_b32_e32 v21, -2
	v_mov_b32_e32 v22, 1
	s_movk_i32 s66, 0x7ff
	v_lshlrev_b32_e32 v23, 2, v0
	s_movk_i32 s67, 0x800
	v_cmp_ne_u32_e64 s[10:11], 1, v5
	v_mbcnt_hi_u32_b32 v25, -1, v1
	v_mov_b32_e32 v26, 0x7ffff800
	v_add_u32_e32 v27, v2, v3
	s_mov_b32 s68, 0
	s_branch .LBB2_14
.LBB2_13:                               ;   in Loop: Header=BB2_14 Depth=1
	s_andn2_b64 vcc, exec, s[42:43]
	s_cbranch_vccz .LBB2_147
.LBB2_14:                               ; =>This Loop Header: Depth=1
                                        ;     Child Loop BB2_21 Depth 2
                                        ;     Child Loop BB2_24 Depth 2
	;; [unrolled: 1-line block ×8, first 2 shown]
	s_mov_b64 s[46:47], 0
	s_cmp_lt_i32 s68, 1
	s_mov_b64 s[0:1], s[20:21]
	s_mov_b64 s[44:45], 0
	;; [unrolled: 1-line block ×3, first 2 shown]
	s_cbranch_scc1 .LBB2_19
; %bb.15:                               ;   in Loop: Header=BB2_14 Depth=1
	s_cmp_lg_u32 s68, 1
	s_mov_b64 s[0:1], -1
	s_cbranch_scc0 .LBB2_17
; %bb.16:                               ;   in Loop: Header=BB2_14 Depth=1
	s_mov_b64 s[0:1], 0
.LBB2_17:                               ;   in Loop: Header=BB2_14 Depth=1
	s_andn2_b64 vcc, exec, s[0:1]
	s_mov_b64 s[2:3], s[40:41]
	s_mov_b64 s[44:45], s[38:39]
	s_mov_b64 s[46:47], s[36:37]
	s_mov_b64 s[0:1], s[34:35]
	s_cbranch_vccnz .LBB2_19
; %bb.18:                               ;   in Loop: Header=BB2_14 Depth=1
	s_mov_b64 s[2:3], s[36:37]
	s_mov_b64 s[44:45], s[34:35]
	;; [unrolled: 1-line block ×4, first 2 shown]
.LBB2_19:                               ;   in Loop: Header=BB2_14 Depth=1
	ds_read_b96 v[2:4], v12
	s_mov_b64 s[24:25], -1
	s_and_b64 vcc, exec, s[10:11]
	v_mov_b32_e32 v1, v0
	s_waitcnt lgkmcnt(0)
	v_readfirstlane_b32 s69, v2
	v_readfirstlane_b32 s63, v3
	;; [unrolled: 1-line block ×3, first 2 shown]
	v_mov_b32_e32 v2, v9
	s_cbranch_vccnz .LBB2_28
; %bb.20:                               ;   in Loop: Header=BB2_14 Depth=1
	s_mov_b32 s26, 0
	s_mov_b64 s[24:25], 0
	v_mov_b32_e32 v1, v16
.LBB2_21:                               ;   Parent Loop BB2_14 Depth=1
                                        ; =>  This Inner Loop Header: Depth=2
	s_add_i32 s26, s26, 16
	v_cmp_eq_u32_e32 vcc, s26, v17
	ds_write2_b32 v1, v12, v12 offset1:1
	ds_write2_b32 v1, v12, v12 offset0:2 offset1:3
	ds_write2_b32 v1, v12, v12 offset0:4 offset1:5
	ds_write2_b32 v1, v12, v12 offset0:6 offset1:7
	ds_write2_b32 v1, v12, v12 offset0:8 offset1:9
	ds_write2_b32 v1, v12, v12 offset0:10 offset1:11
	ds_write2_b32 v1, v12, v12 offset0:12 offset1:13
	ds_write2_b32 v1, v12, v12 offset0:14 offset1:15
	s_or_b64 s[24:25], vcc, s[24:25]
	v_add_u32_e32 v1, 64, v1
	s_andn2_b64 exec, exec, s[24:25]
	s_cbranch_execnz .LBB2_21
; %bb.22:                               ;   in Loop: Header=BB2_14 Depth=1
	s_or_b64 exec, exec, s[24:25]
	s_and_saveexec_b64 s[24:25], s[6:7]
	s_cbranch_execz .LBB2_25
; %bb.23:                               ;   in Loop: Header=BB2_14 Depth=1
	s_mov_b32 s42, 0
	s_mov_b64 s[26:27], 0
.LBB2_24:                               ;   Parent Loop BB2_14 Depth=1
                                        ; =>  This Inner Loop Header: Depth=2
	v_add_u32_e32 v2, s42, v1
	s_add_i32 s42, s42, 8
	v_cmp_eq_u32_e32 vcc, s42, v18
	s_or_b64 s[26:27], vcc, s[26:27]
	ds_write2_b32 v2, v12, v12 offset1:1
	s_andn2_b64 exec, exec, s[26:27]
	s_cbranch_execnz .LBB2_24
.LBB2_25:                               ;   in Loop: Header=BB2_14 Depth=1
	s_or_b64 exec, exec, s[24:25]
	s_mov_b64 s[24:25], 0
	s_and_saveexec_b64 s[26:27], s[8:9]
; %bb.26:                               ;   in Loop: Header=BB2_14 Depth=1
	s_mov_b64 s[24:25], exec
; %bb.27:                               ;   in Loop: Header=BB2_14 Depth=1
	s_or_b64 exec, exec, s[26:27]
	v_mov_b32_e32 v1, v15
	v_mov_b32_e32 v2, v20
.LBB2_28:                               ;   in Loop: Header=BB2_14 Depth=1
	s_and_saveexec_b64 s[26:27], s[24:25]
	s_cbranch_execz .LBB2_31
; %bb.29:                               ;   in Loop: Header=BB2_14 Depth=1
	v_add_u32_e32 v2, 0x280, v2
	s_mov_b64 s[24:25], 0
.LBB2_30:                               ;   Parent Loop BB2_14 Depth=1
                                        ; =>  This Inner Loop Header: Depth=2
	v_add_u32_e32 v1, s60, v1
	v_cmp_lt_u32_e32 vcc, s65, v1
	ds_write_b32 v2, v12
	s_or_b64 s[24:25], vcc, s[24:25]
	v_add_u32_e32 v2, s64, v2
	s_andn2_b64 exec, exec, s[24:25]
	s_cbranch_execnz .LBB2_30
.LBB2_31:                               ;   in Loop: Header=BB2_14 Depth=1
	s_or_b64 exec, exec, s[26:27]
	s_and_saveexec_b64 s[24:25], s[12:13]
; %bb.32:                               ;   in Loop: Header=BB2_14 Depth=1
	ds_write_b32 v12, v12 offset:128
; %bb.33:                               ;   in Loop: Header=BB2_14 Depth=1
	s_or_b64 exec, exec, s[24:25]
	s_cmp_gt_i32 s30, s28
	s_cselect_b64 s[48:49], -1, 0
	s_cmp_gt_i32 s63, s28
	s_cselect_b64 s[24:25], -1, 0
	s_and_b64 s[26:27], s[48:49], exec
	s_cselect_b32 s43, s21, s1
	s_cselect_b32 s42, s20, s0
	;; [unrolled: 1-line block ×3, first 2 shown]
	s_and_b64 s[0:1], s[24:25], exec
	s_mul_i32 s30, s68, -11
	s_cselect_b32 s27, 0, s45
	s_cselect_b32 s26, 0, s44
	s_max_i32 s62, s30, 0xffffffeb
	s_add_i32 s62, s62, 21
	s_add_i32 s30, s30, 32
	s_sub_i32 s0, s30, s62
	s_lshl_b32 s0, -1, s0
	s_not_b32 s70, s0
	s_cmp_lg_u32 s68, 0
	s_waitcnt lgkmcnt(0)
	s_barrier
	s_cbranch_scc0 .LBB2_49
; %bb.34:                               ;   in Loop: Header=BB2_14 Depth=1
	ds_read_b32 v1, v12 offset:12
	s_cmp_lg_u64 s[26:27], 0
	v_cmp_gt_i32_e64 s[0:1], s71, v0
	s_cbranch_scc0 .LBB2_51
; %bb.35:                               ;   in Loop: Header=BB2_14 Depth=1
	s_and_b64 s[48:49], s[48:49], exec
	s_cselect_b32 s47, s23, s47
	s_cselect_b32 s46, s22, s46
	s_cmp_eq_u64 s[46:47], 0
	s_cbranch_scc1 .LBB2_52
; %bb.36:                               ;   in Loop: Header=BB2_14 Depth=1
	s_and_saveexec_b64 s[48:49], s[0:1]
	s_cbranch_execz .LBB2_50
; %bb.37:                               ;   in Loop: Header=BB2_14 Depth=1
	s_lshl_b32 s72, -1, s30
	s_mov_b64 s[50:51], 0
	v_mov_b32_e32 v2, v0
	s_branch .LBB2_40
.LBB2_38:                               ;   in Loop: Header=BB2_40 Depth=2
	s_or_b64 exec, exec, s[54:55]
	v_lshl_add_u64 v[28:29], v[2:3], 2, s[46:47]
	global_load_dword v3, v[28:29], off
	s_waitcnt lgkmcnt(0)
	v_readfirstlane_b32 s54, v7
	v_xor_b32_e32 v5, v5, v4
	v_lshrrev_b32_e32 v5, s62, v5
	v_add_u32_e32 v6, s54, v6
	v_ashrrev_i32_e32 v7, 31, v6
	v_lshlrev_b64 v[6:7], 2, v[6:7]
	v_and_b32_e32 v5, s70, v5
	v_lshl_add_u64 v[28:29], s[44:45], 0, v[6:7]
	v_lshl_add_u64 v[6:7], s[2:3], 0, v[6:7]
	global_store_dword v[28:29], v4, off
	s_waitcnt vmcnt(1)
	global_store_dword v[6:7], v3, off
	v_lshlrev_b32_e32 v3, 2, v5
	ds_add_u32 v3, v22 offset:640
.LBB2_39:                               ;   in Loop: Header=BB2_40 Depth=2
	s_or_b64 exec, exec, s[52:53]
	v_add_u32_e32 v2, s60, v2
	v_cmp_le_i32_e32 vcc, s71, v2
	s_or_b64 s[50:51], vcc, s[50:51]
	s_andn2_b64 exec, exec, s[50:51]
	s_cbranch_execz .LBB2_50
.LBB2_40:                               ;   Parent Loop BB2_14 Depth=1
                                        ; =>  This Inner Loop Header: Depth=2
	v_ashrrev_i32_e32 v3, 31, v2
	v_lshl_add_u64 v[4:5], v[2:3], 2, s[42:43]
	global_load_dword v4, v[4:5], off
	s_waitcnt vmcnt(0)
	v_cmp_gt_f32_e32 vcc, 0, v4
	s_nop 1
	v_cndmask_b32_e64 v5, v21, 0, vcc
	v_bitop3_b32 v6, v5, s72, v4 bitop3:0x48
	s_waitcnt lgkmcnt(0)
	v_cmp_ne_u32_e32 vcc, v6, v1
	s_and_saveexec_b64 s[52:53], vcc
	s_xor_b64 s[52:53], exec, s[52:53]
	s_cbranch_execz .LBB2_46
; %bb.41:                               ;   in Loop: Header=BB2_40 Depth=2
	v_cmp_lt_u32_e32 vcc, v6, v1
	s_and_saveexec_b64 s[54:55], vcc
	s_cbranch_execz .LBB2_45
; %bb.42:                               ;   in Loop: Header=BB2_40 Depth=2
	s_mov_b64 s[58:59], exec
	v_mbcnt_lo_u32_b32 v5, s58, 0
	v_mbcnt_hi_u32_b32 v5, s59, v5
	v_cmp_eq_u32_e32 vcc, 0, v5
                                        ; implicit-def: $vgpr6
	s_and_saveexec_b64 s[56:57], vcc
; %bb.43:                               ;   in Loop: Header=BB2_40 Depth=2
	s_bcnt1_i32_b64 s58, s[58:59]
	v_mov_b32_e32 v6, s58
	ds_add_rtn_u32 v6, v12, v6 offset:384
; %bb.44:                               ;   in Loop: Header=BB2_40 Depth=2
	s_or_b64 exec, exec, s[56:57]
	v_lshl_add_u64 v[28:29], v[2:3], 2, s[46:47]
	global_load_dword v8, v[28:29], off
	s_waitcnt lgkmcnt(0)
	v_readfirstlane_b32 s56, v6
	s_nop 1
	v_add_u32_e32 v6, s56, v5
	v_ashrrev_i32_e32 v7, 31, v6
	v_lshlrev_b64 v[6:7], 2, v[6:7]
	v_lshl_add_u64 v[28:29], s[16:17], 0, v[6:7]
	global_store_dword v[28:29], v4, off
	v_lshl_add_u64 v[4:5], s[18:19], 0, v[6:7]
	s_waitcnt vmcnt(1)
	global_store_dword v[4:5], v8, off
.LBB2_45:                               ;   in Loop: Header=BB2_40 Depth=2
	s_or_b64 exec, exec, s[54:55]
                                        ; implicit-def: $vgpr5
                                        ; implicit-def: $vgpr4
.LBB2_46:                               ;   in Loop: Header=BB2_40 Depth=2
	s_andn2_saveexec_b64 s[52:53], s[52:53]
	s_cbranch_execz .LBB2_39
; %bb.47:                               ;   in Loop: Header=BB2_40 Depth=2
	s_mov_b64 s[56:57], exec
	v_mbcnt_lo_u32_b32 v6, s56, 0
	v_mbcnt_hi_u32_b32 v6, s57, v6
	v_cmp_eq_u32_e32 vcc, 0, v6
                                        ; implicit-def: $vgpr7
	s_and_saveexec_b64 s[54:55], vcc
	s_cbranch_execz .LBB2_38
; %bb.48:                               ;   in Loop: Header=BB2_40 Depth=2
	s_bcnt1_i32_b64 s56, s[56:57]
	v_mov_b32_e32 v7, s56
	ds_add_rtn_u32 v7, v12, v7 offset:128
	s_branch .LBB2_38
.LBB2_49:                               ;   in Loop: Header=BB2_14 Depth=1
	s_mov_b64 s[44:45], 0
	s_branch .LBB2_75
.LBB2_50:                               ;   in Loop: Header=BB2_14 Depth=1
	s_or_b64 exec, exec, s[48:49]
	s_cbranch_execz .LBB2_53
	s_branch .LBB2_67
.LBB2_51:                               ;   in Loop: Header=BB2_14 Depth=1
	s_branch .LBB2_68
.LBB2_52:                               ;   in Loop: Header=BB2_14 Depth=1
.LBB2_53:                               ;   in Loop: Header=BB2_14 Depth=1
	s_and_saveexec_b64 s[46:47], s[0:1]
	s_cbranch_execz .LBB2_66
; %bb.54:                               ;   in Loop: Header=BB2_14 Depth=1
	s_lshl_b32 s56, -1, s30
	s_mov_b64 s[0:1], 0
	v_mov_b32_e32 v2, v0
	s_branch .LBB2_57
.LBB2_55:                               ;   in Loop: Header=BB2_57 Depth=2
	s_or_b64 exec, exec, s[50:51]
	s_waitcnt lgkmcnt(0)
	v_readfirstlane_b32 s50, v6
	v_xor_b32_e32 v8, v4, v3
	s_nop 0
	v_add_u32_e32 v4, s50, v5
	v_ashrrev_i32_e32 v5, 31, v4
	v_lshlrev_b64 v[4:5], 2, v[4:5]
	v_lshl_add_u64 v[6:7], s[44:45], 0, v[4:5]
	global_store_dword v[6:7], v3, off
	v_lshrrev_b32_e32 v3, s62, v8
	v_lshl_add_u64 v[4:5], s[2:3], 0, v[4:5]
	v_and_b32_e32 v3, s70, v3
	global_store_dword v[4:5], v2, off
	v_lshlrev_b32_e32 v3, 2, v3
	ds_add_u32 v3, v22 offset:640
.LBB2_56:                               ;   in Loop: Header=BB2_57 Depth=2
	s_or_b64 exec, exec, s[48:49]
	v_add_u32_e32 v2, s60, v2
	v_cmp_le_i32_e32 vcc, s71, v2
	s_or_b64 s[0:1], vcc, s[0:1]
	s_andn2_b64 exec, exec, s[0:1]
	s_cbranch_execz .LBB2_66
.LBB2_57:                               ;   Parent Loop BB2_14 Depth=1
                                        ; =>  This Inner Loop Header: Depth=2
	v_ashrrev_i32_e32 v3, 31, v2
	v_lshl_add_u64 v[4:5], v[2:3], 2, s[42:43]
	global_load_dword v3, v[4:5], off
	s_waitcnt vmcnt(0)
	v_cmp_gt_f32_e32 vcc, 0, v3
	s_nop 1
	v_cndmask_b32_e64 v4, v21, 0, vcc
	v_bitop3_b32 v5, v4, s56, v3 bitop3:0x48
	s_waitcnt lgkmcnt(0)
	v_cmp_ne_u32_e32 vcc, v5, v1
	s_and_saveexec_b64 s[48:49], vcc
	s_xor_b64 s[48:49], exec, s[48:49]
	s_cbranch_execz .LBB2_63
; %bb.58:                               ;   in Loop: Header=BB2_57 Depth=2
	v_cmp_lt_u32_e32 vcc, v5, v1
	s_and_saveexec_b64 s[50:51], vcc
	s_cbranch_execz .LBB2_62
; %bb.59:                               ;   in Loop: Header=BB2_57 Depth=2
	s_mov_b64 s[54:55], exec
	v_mbcnt_lo_u32_b32 v4, s54, 0
	v_mbcnt_hi_u32_b32 v4, s55, v4
	v_cmp_eq_u32_e32 vcc, 0, v4
                                        ; implicit-def: $vgpr5
	s_and_saveexec_b64 s[52:53], vcc
; %bb.60:                               ;   in Loop: Header=BB2_57 Depth=2
	s_bcnt1_i32_b64 s54, s[54:55]
	v_mov_b32_e32 v5, s54
	ds_add_rtn_u32 v5, v12, v5 offset:384
; %bb.61:                               ;   in Loop: Header=BB2_57 Depth=2
	s_or_b64 exec, exec, s[52:53]
	s_waitcnt lgkmcnt(0)
	v_readfirstlane_b32 s52, v5
	s_nop 1
	v_add_u32_e32 v4, s52, v4
	v_ashrrev_i32_e32 v5, 31, v4
	v_lshlrev_b64 v[4:5], 2, v[4:5]
	v_lshl_add_u64 v[6:7], s[16:17], 0, v[4:5]
	v_lshl_add_u64 v[4:5], s[18:19], 0, v[4:5]
	global_store_dword v[6:7], v3, off
	global_store_dword v[4:5], v2, off
.LBB2_62:                               ;   in Loop: Header=BB2_57 Depth=2
	s_or_b64 exec, exec, s[50:51]
                                        ; implicit-def: $vgpr4
                                        ; implicit-def: $vgpr3
.LBB2_63:                               ;   in Loop: Header=BB2_57 Depth=2
	s_andn2_saveexec_b64 s[48:49], s[48:49]
	s_cbranch_execz .LBB2_56
; %bb.64:                               ;   in Loop: Header=BB2_57 Depth=2
	s_mov_b64 s[52:53], exec
	v_mbcnt_lo_u32_b32 v5, s52, 0
	v_mbcnt_hi_u32_b32 v5, s53, v5
	v_cmp_eq_u32_e32 vcc, 0, v5
                                        ; implicit-def: $vgpr6
	s_and_saveexec_b64 s[50:51], vcc
	s_cbranch_execz .LBB2_55
; %bb.65:                               ;   in Loop: Header=BB2_57 Depth=2
	s_bcnt1_i32_b64 s52, s[52:53]
	v_mov_b32_e32 v6, s52
	ds_add_rtn_u32 v6, v12, v6 offset:128
	s_branch .LBB2_55
.LBB2_66:                               ;   in Loop: Header=BB2_14 Depth=1
	s_or_b64 exec, exec, s[46:47]
.LBB2_67:                               ;   in Loop: Header=BB2_14 Depth=1
	s_cbranch_execnz .LBB2_74
.LBB2_68:                               ;   in Loop: Header=BB2_14 Depth=1
	v_cmp_gt_i32_e32 vcc, s71, v0
	s_and_saveexec_b64 s[0:1], vcc
	s_cbranch_execz .LBB2_73
; %bb.69:                               ;   in Loop: Header=BB2_14 Depth=1
	s_lshl_b32 s30, -1, s30
	s_mov_b64 s[44:45], 0
	v_mov_b32_e32 v2, v0
	s_branch .LBB2_71
.LBB2_70:                               ;   in Loop: Header=BB2_71 Depth=2
	s_or_b64 exec, exec, s[46:47]
	v_add_u32_e32 v2, s60, v2
	v_cmp_le_i32_e32 vcc, s71, v2
	s_or_b64 s[44:45], vcc, s[44:45]
	s_andn2_b64 exec, exec, s[44:45]
	s_cbranch_execz .LBB2_73
.LBB2_71:                               ;   Parent Loop BB2_14 Depth=1
                                        ; =>  This Inner Loop Header: Depth=2
	v_ashrrev_i32_e32 v3, 31, v2
	v_lshl_add_u64 v[4:5], v[2:3], 2, s[42:43]
	global_load_dword v3, v[4:5], off
	s_waitcnt vmcnt(0)
	v_cmp_gt_f32_e32 vcc, 0, v3
	s_nop 1
	v_cndmask_b32_e64 v4, v21, 0, vcc
	v_bitop3_b32 v5, v4, s30, v3 bitop3:0x48
	s_waitcnt lgkmcnt(0)
	v_cmp_eq_u32_e32 vcc, v5, v1
	s_and_saveexec_b64 s[46:47], vcc
	s_cbranch_execz .LBB2_70
; %bb.72:                               ;   in Loop: Header=BB2_71 Depth=2
	v_xor_b32_e32 v3, v4, v3
	v_lshrrev_b32_e32 v3, s62, v3
	v_and_b32_e32 v3, s70, v3
	v_lshlrev_b32_e32 v3, 2, v3
	ds_add_u32 v3, v22 offset:640
	s_branch .LBB2_70
.LBB2_73:                               ;   in Loop: Header=BB2_14 Depth=1
	s_or_b64 exec, exec, s[0:1]
.LBB2_74:                               ;   in Loop: Header=BB2_14 Depth=1
	s_mov_b64 s[44:45], 0
	s_cbranch_execnz .LBB2_133
.LBB2_75:                               ;   in Loop: Header=BB2_14 Depth=1
	s_and_b32 s30, s42, 15
	s_sub_i32 s0, 16, s30
	s_lshr_b32 s0, s0, 2
	s_cmp_lg_u64 s[30:31], 0
	s_cselect_b32 s0, s0, 0
	s_min_i32 s0, s0, s71
	s_sub_i32 s1, s71, s0
	s_ashr_i32 s30, s1, 31
	s_lshr_b32 s30, s30, 30
	s_add_i32 s1, s1, s30
	s_ashr_i32 s30, s1, 2
	v_cmp_gt_i32_e32 vcc, s30, v0
	s_waitcnt lgkmcnt(0)
	v_mov_b32_e32 v1, 0xff7fffff
	v_mov_b32_e32 v8, 0x7f7fffff
	;; [unrolled: 1-line block ×3, first 2 shown]
	v_mov_b32_e32 v28, -1
                                        ; implicit-def: $vgpr5
	s_and_saveexec_b64 s[44:45], vcc
	s_cbranch_execz .LBB2_103
; %bb.76:                               ;   in Loop: Header=BB2_14 Depth=1
	s_ashr_i32 s1, s0, 31
	s_lshl_b64 s[46:47], s[0:1], 2
	s_add_u32 s46, s42, s46
	s_addc_u32 s47, s43, s47
	v_mov_b32_e32 v29, 0
	v_mov_b32_e32 v28, -1
	v_mov_b32_e32 v8, 0x7f7fffff
	v_mov_b32_e32 v1, 0xff7fffff
	s_mov_b64 s[48:49], 0
	v_mov_b32_e32 v6, v0
	s_branch .LBB2_78
.LBB2_77:                               ;   in Loop: Header=BB2_78 Depth=2
	s_or_b64 exec, exec, s[50:51]
	v_min3_f32 v7, v8, v2, v3
	v_max3_f32 v1, v1, v2, v3
	v_and_b32_e32 v2, 0x7ff, v31
	v_lshlrev_b32_e32 v2, 2, v2
	ds_add_u32 v2, v22 offset:8832
	v_add_u32_e32 v6, s60, v6
	v_cmp_le_i32_e32 vcc, s30, v6
	v_min3_f32 v8, v7, v4, v5
	s_or_b64 s[48:49], vcc, s[48:49]
	v_max3_f32 v1, v1, v4, v5
	s_andn2_b64 exec, exec, s[48:49]
	s_cbranch_execz .LBB2_102
.LBB2_78:                               ;   Parent Loop BB2_14 Depth=1
                                        ; =>  This Inner Loop Header: Depth=2
	v_ashrrev_i32_e32 v7, 31, v6
	v_lshl_add_u64 v[2:3], v[6:7], 4, s[46:47]
	global_load_dwordx4 v[2:5], v[2:3], off
	s_waitcnt vmcnt(0)
	v_cmp_gt_f32_e32 vcc, 0, v2
	s_nop 1
	v_cndmask_b32_e64 v7, v21, 0, vcc
	v_xor_b32_e32 v31, v7, v2
	v_lshrrev_b32_e32 v7, s62, v31
	v_and_b32_e32 v7, s70, v7
	v_cmp_ne_u32_e32 vcc, v7, v28
	s_and_saveexec_b64 s[50:51], vcc
	s_xor_b64 s[50:51], exec, s[50:51]
	s_cbranch_execz .LBB2_82
; %bb.79:                               ;   in Loop: Header=BB2_78 Depth=2
	v_cmp_lt_i32_e32 vcc, 0, v29
	s_and_saveexec_b64 s[52:53], vcc
; %bb.80:                               ;   in Loop: Header=BB2_78 Depth=2
	v_lshlrev_b32_e32 v28, 2, v28
	ds_add_u32 v28, v29 offset:640
; %bb.81:                               ;   in Loop: Header=BB2_78 Depth=2
	s_or_b64 exec, exec, s[52:53]
                                        ; implicit-def: $vgpr29
                                        ; implicit-def: $vgpr28
.LBB2_82:                               ;   in Loop: Header=BB2_78 Depth=2
	s_or_saveexec_b64 s[50:51], s[50:51]
	v_mov_b32_e32 v30, 1
	s_xor_b64 exec, exec, s[50:51]
; %bb.83:                               ;   in Loop: Header=BB2_78 Depth=2
	v_add_u32_e32 v30, 1, v29
	v_mov_b32_e32 v7, v28
; %bb.84:                               ;   in Loop: Header=BB2_78 Depth=2
	s_or_b64 exec, exec, s[50:51]
	v_and_b32_e32 v28, 0x7ff, v31
	v_lshlrev_b32_e32 v28, 2, v28
	v_cmp_gt_f32_e32 vcc, 0, v3
	ds_add_u32 v28, v22 offset:8832
	s_nop 0
	v_cndmask_b32_e64 v28, v21, 0, vcc
	v_xor_b32_e32 v31, v28, v3
	v_lshrrev_b32_e32 v28, s62, v31
	v_and_b32_e32 v28, s70, v28
	v_cmp_ne_u32_e32 vcc, v28, v7
	s_and_saveexec_b64 s[50:51], vcc
	s_xor_b64 s[50:51], exec, s[50:51]
	s_cbranch_execz .LBB2_88
; %bb.85:                               ;   in Loop: Header=BB2_78 Depth=2
	v_cmp_lt_i32_e32 vcc, 0, v30
	s_and_saveexec_b64 s[52:53], vcc
; %bb.86:                               ;   in Loop: Header=BB2_78 Depth=2
	v_lshlrev_b32_e32 v7, 2, v7
	ds_add_u32 v7, v30 offset:640
; %bb.87:                               ;   in Loop: Header=BB2_78 Depth=2
	s_or_b64 exec, exec, s[52:53]
                                        ; implicit-def: $vgpr30
                                        ; implicit-def: $vgpr7
.LBB2_88:                               ;   in Loop: Header=BB2_78 Depth=2
	s_or_saveexec_b64 s[50:51], s[50:51]
	v_mov_b32_e32 v29, 1
	s_xor_b64 exec, exec, s[50:51]
; %bb.89:                               ;   in Loop: Header=BB2_78 Depth=2
	v_add_u32_e32 v29, 1, v30
	v_mov_b32_e32 v28, v7
; %bb.90:                               ;   in Loop: Header=BB2_78 Depth=2
	s_or_b64 exec, exec, s[50:51]
	v_and_b32_e32 v7, 0x7ff, v31
	v_lshlrev_b32_e32 v7, 2, v7
	v_cmp_gt_f32_e32 vcc, 0, v4
	ds_add_u32 v7, v22 offset:8832
	s_nop 0
	v_cndmask_b32_e64 v7, v21, 0, vcc
	v_xor_b32_e32 v31, v7, v4
	v_lshrrev_b32_e32 v7, s62, v31
	v_and_b32_e32 v7, s70, v7
	v_cmp_ne_u32_e32 vcc, v7, v28
	s_and_saveexec_b64 s[50:51], vcc
	s_xor_b64 s[50:51], exec, s[50:51]
	s_cbranch_execz .LBB2_94
; %bb.91:                               ;   in Loop: Header=BB2_78 Depth=2
	v_cmp_lt_i32_e32 vcc, 0, v29
	s_and_saveexec_b64 s[52:53], vcc
; %bb.92:                               ;   in Loop: Header=BB2_78 Depth=2
	v_lshlrev_b32_e32 v28, 2, v28
	ds_add_u32 v28, v29 offset:640
; %bb.93:                               ;   in Loop: Header=BB2_78 Depth=2
	s_or_b64 exec, exec, s[52:53]
                                        ; implicit-def: $vgpr29
                                        ; implicit-def: $vgpr28
.LBB2_94:                               ;   in Loop: Header=BB2_78 Depth=2
	s_or_saveexec_b64 s[50:51], s[50:51]
	v_mov_b32_e32 v30, 1
	s_xor_b64 exec, exec, s[50:51]
; %bb.95:                               ;   in Loop: Header=BB2_78 Depth=2
	v_add_u32_e32 v30, 1, v29
	v_mov_b32_e32 v7, v28
; %bb.96:                               ;   in Loop: Header=BB2_78 Depth=2
	s_or_b64 exec, exec, s[50:51]
	v_and_b32_e32 v28, 0x7ff, v31
	v_lshlrev_b32_e32 v28, 2, v28
	v_cmp_gt_f32_e32 vcc, 0, v5
	ds_add_u32 v28, v22 offset:8832
	s_nop 0
	v_cndmask_b32_e64 v28, v21, 0, vcc
	v_xor_b32_e32 v31, v28, v5
	v_lshrrev_b32_e32 v28, s62, v31
	v_and_b32_e32 v28, s70, v28
	v_cmp_ne_u32_e32 vcc, v28, v7
	s_and_saveexec_b64 s[50:51], vcc
	s_xor_b64 s[50:51], exec, s[50:51]
	s_cbranch_execz .LBB2_100
; %bb.97:                               ;   in Loop: Header=BB2_78 Depth=2
	v_cmp_lt_i32_e32 vcc, 0, v30
	s_and_saveexec_b64 s[52:53], vcc
; %bb.98:                               ;   in Loop: Header=BB2_78 Depth=2
	v_lshlrev_b32_e32 v7, 2, v7
	ds_add_u32 v7, v30 offset:640
; %bb.99:                               ;   in Loop: Header=BB2_78 Depth=2
	s_or_b64 exec, exec, s[52:53]
                                        ; implicit-def: $vgpr30
                                        ; implicit-def: $vgpr7
.LBB2_100:                              ;   in Loop: Header=BB2_78 Depth=2
	s_or_saveexec_b64 s[50:51], s[50:51]
	v_mov_b32_e32 v29, 1
	s_xor_b64 exec, exec, s[50:51]
	s_cbranch_execz .LBB2_77
; %bb.101:                              ;   in Loop: Header=BB2_78 Depth=2
	v_add_u32_e32 v29, 1, v30
	v_mov_b32_e32 v28, v7
	s_branch .LBB2_77
.LBB2_102:                              ;   in Loop: Header=BB2_14 Depth=1
	s_or_b64 exec, exec, s[48:49]
.LBB2_103:                              ;   in Loop: Header=BB2_14 Depth=1
	s_or_b64 exec, exec, s[44:45]
	v_cmp_gt_u32_e32 vcc, s0, v0
	s_and_saveexec_b64 s[44:45], vcc
	s_cbranch_execz .LBB2_111
; %bb.104:                              ;   in Loop: Header=BB2_14 Depth=1
	global_load_dword v5, v23, s[42:43]
	s_waitcnt vmcnt(0)
	v_cmp_gt_f32_e32 vcc, 0, v5
	s_nop 1
	v_cndmask_b32_e64 v2, v21, 0, vcc
	v_xor_b32_e32 v3, v2, v5
	v_lshrrev_b32_e32 v2, s62, v3
	v_and_b32_e32 v2, s70, v2
	v_cmp_ne_u32_e32 vcc, v2, v28
	s_and_saveexec_b64 s[46:47], vcc
	s_xor_b64 s[46:47], exec, s[46:47]
	s_cbranch_execz .LBB2_108
; %bb.105:                              ;   in Loop: Header=BB2_14 Depth=1
	v_cmp_lt_i32_e32 vcc, 0, v29
	s_and_saveexec_b64 s[48:49], vcc
; %bb.106:                              ;   in Loop: Header=BB2_14 Depth=1
	v_lshlrev_b32_e32 v4, 2, v28
	ds_add_u32 v4, v29 offset:640
; %bb.107:                              ;   in Loop: Header=BB2_14 Depth=1
	s_or_b64 exec, exec, s[48:49]
                                        ; implicit-def: $vgpr29
                                        ; implicit-def: $vgpr28
.LBB2_108:                              ;   in Loop: Header=BB2_14 Depth=1
	s_or_saveexec_b64 s[46:47], s[46:47]
	v_mov_b32_e32 v4, 1
	s_xor_b64 exec, exec, s[46:47]
; %bb.109:                              ;   in Loop: Header=BB2_14 Depth=1
	v_add_u32_e32 v4, 1, v29
	v_mov_b32_e32 v2, v28
; %bb.110:                              ;   in Loop: Header=BB2_14 Depth=1
	s_or_b64 exec, exec, s[46:47]
	v_and_b32_e32 v3, 0x7ff, v3
	v_lshlrev_b32_e32 v3, 2, v3
	ds_add_u32 v3, v22 offset:8832
	v_max_f32_e32 v3, v8, v8
	v_max_f32_e32 v6, v5, v5
	;; [unrolled: 1-line block ×3, first 2 shown]
	v_min_f32_e32 v8, v3, v6
	v_max_f32_e32 v1, v1, v6
	v_mov_b32_e32 v28, v2
	v_mov_b32_e32 v29, v4
.LBB2_111:                              ;   in Loop: Header=BB2_14 Depth=1
	s_or_b64 exec, exec, s[44:45]
	s_lshl_b32 s1, s30, 2
	s_add_i32 s1, s1, s0
	v_add_u32_e32 v2, s1, v0
	v_cmp_gt_i32_e32 vcc, s71, v2
	s_and_saveexec_b64 s[0:1], vcc
	s_cbranch_execz .LBB2_119
; %bb.112:                              ;   in Loop: Header=BB2_14 Depth=1
	v_ashrrev_i32_e32 v3, 31, v2
	v_lshl_add_u64 v[2:3], v[2:3], 2, s[42:43]
	global_load_dword v5, v[2:3], off
	s_waitcnt vmcnt(0)
	v_cmp_gt_f32_e32 vcc, 0, v5
	s_nop 1
	v_cndmask_b32_e64 v2, v21, 0, vcc
	v_xor_b32_e32 v3, v2, v5
	v_lshrrev_b32_e32 v2, s62, v3
	v_and_b32_e32 v2, s70, v2
	v_cmp_ne_u32_e32 vcc, v2, v28
	s_and_saveexec_b64 s[42:43], vcc
	s_xor_b64 s[42:43], exec, s[42:43]
	s_cbranch_execz .LBB2_116
; %bb.113:                              ;   in Loop: Header=BB2_14 Depth=1
	v_cmp_lt_i32_e32 vcc, 0, v29
	s_and_saveexec_b64 s[44:45], vcc
; %bb.114:                              ;   in Loop: Header=BB2_14 Depth=1
	v_lshlrev_b32_e32 v4, 2, v28
	ds_add_u32 v4, v29 offset:640
; %bb.115:                              ;   in Loop: Header=BB2_14 Depth=1
	s_or_b64 exec, exec, s[44:45]
                                        ; implicit-def: $vgpr29
                                        ; implicit-def: $vgpr28
.LBB2_116:                              ;   in Loop: Header=BB2_14 Depth=1
	s_or_saveexec_b64 s[42:43], s[42:43]
	v_mov_b32_e32 v4, 1
	s_xor_b64 exec, exec, s[42:43]
; %bb.117:                              ;   in Loop: Header=BB2_14 Depth=1
	v_add_u32_e32 v4, 1, v29
	v_mov_b32_e32 v2, v28
; %bb.118:                              ;   in Loop: Header=BB2_14 Depth=1
	s_or_b64 exec, exec, s[42:43]
	v_and_b32_e32 v3, 0x7ff, v3
	v_lshlrev_b32_e32 v3, 2, v3
	ds_add_u32 v3, v22 offset:8832
	v_max_f32_e32 v3, v8, v8
	v_max_f32_e32 v6, v5, v5
	;; [unrolled: 1-line block ×3, first 2 shown]
	v_min_f32_e32 v8, v3, v6
	v_max_f32_e32 v1, v1, v6
	v_mov_b32_e32 v28, v2
	v_mov_b32_e32 v29, v4
.LBB2_119:                              ;   in Loop: Header=BB2_14 Depth=1
	s_or_b64 exec, exec, s[0:1]
	v_cmp_lt_i32_e32 vcc, 0, v29
	s_and_saveexec_b64 s[0:1], vcc
	s_cbranch_execz .LBB2_122
; %bb.120:                              ;   in Loop: Header=BB2_14 Depth=1
	v_cmp_lt_f32_e32 vcc, 0, v5
	v_xor_b32_e32 v2, 0x80000000, v5
	s_nop 0
	v_cndmask_b32_e64 v3, v21, 0, vcc
	v_xor_b32_e32 v2, v3, v2
	v_lshrrev_b32_e32 v2, s62, v2
	v_and_b32_e32 v2, s70, v2
	v_cmp_ne_u32_e32 vcc, v2, v28
	s_and_b64 exec, exec, vcc
; %bb.121:                              ;   in Loop: Header=BB2_14 Depth=1
	v_lshlrev_b32_e32 v2, 2, v28
	ds_add_u32 v2, v29 offset:640
.LBB2_122:                              ;   in Loop: Header=BB2_14 Depth=1
	s_or_b64 exec, exec, s[0:1]
	v_mov_b32_dpp v2, v8 quad_perm:[1,0,3,2] row_mask:0xf bank_mask:0xf bound_ctrl:1
	v_cmp_lt_f32_e32 vcc, v8, v2
	s_nop 1
	v_cndmask_b32_e32 v2, v2, v8, vcc
	s_nop 1
	v_mov_b32_dpp v3, v2 quad_perm:[2,3,0,1] row_mask:0xf bank_mask:0xf bound_ctrl:1
	v_cmp_lt_f32_e32 vcc, v2, v3
	s_nop 1
	v_cndmask_b32_e32 v2, v3, v2, vcc
	s_nop 1
	v_mov_b32_dpp v3, v2 row_ror:4 row_mask:0xf bank_mask:0xf bound_ctrl:1
	v_cmp_lt_f32_e32 vcc, v2, v3
	s_nop 1
	v_cndmask_b32_e32 v2, v3, v2, vcc
	s_nop 1
	v_mov_b32_dpp v3, v2 row_ror:8 row_mask:0xf bank_mask:0xf bound_ctrl:1
	v_cmp_lt_f32_e32 vcc, v2, v3
	s_nop 1
	v_cndmask_b32_e32 v2, v3, v2, vcc
	s_nop 1
	v_mov_b32_dpp v3, v2 row_bcast:15 row_mask:0xf bank_mask:0xf bound_ctrl:1
	v_cmp_lt_f32_e32 vcc, v2, v3
	s_nop 1
	v_cndmask_b32_e32 v2, v3, v2, vcc
	s_nop 1
	v_mov_b32_dpp v3, v2 row_bcast:31 row_mask:0xf bank_mask:0xf bound_ctrl:1
	v_cmp_lt_f32_e32 vcc, v2, v3
	s_nop 1
	v_cndmask_b32_e32 v2, v3, v2, vcc
	v_lshlrev_b32_e32 v3, 2, v25
	v_or_b32_e32 v6, 0xfc, v3
	ds_bpermute_b32 v2, v6, v2
	v_cmp_eq_u32_e32 vcc, 0, v25
	s_and_saveexec_b64 s[0:1], vcc
	s_cbranch_execz .LBB2_124
; %bb.123:                              ;   in Loop: Header=BB2_14 Depth=1
	s_waitcnt lgkmcnt(0)
	ds_write_b32 v13, v2
.LBB2_124:                              ;   in Loop: Header=BB2_14 Depth=1
	s_or_b64 exec, exec, s[0:1]
	v_and_b32_e32 v4, 15, v25
	v_or_b32_e32 v3, 32, v3
	v_lshlrev_b32_e32 v5, 2, v4
	s_waitcnt lgkmcnt(0)
	s_barrier
	s_and_saveexec_b64 s[42:43], s[4:5]
	s_cbranch_execz .LBB2_126
; %bb.125:                              ;   in Loop: Header=BB2_14 Depth=1
	ds_read_b32 v2, v5 offset:25472
	v_cmp_ne_u32_e64 s[0:1], 15, v4
	s_nop 1
	v_addc_co_u32_e64 v7, s[0:1], 0, v25, s[0:1]
	v_lshlrev_b32_e32 v7, 2, v7
	s_waitcnt lgkmcnt(0)
	ds_bpermute_b32 v7, v7, v2
	v_cmp_gt_u32_e64 s[0:1], 14, v4
	s_nop 1
	v_cndmask_b32_e64 v8, 0, 2, s[0:1]
	s_waitcnt lgkmcnt(0)
	v_cmp_gt_f32_e64 s[0:1], v2, v7
	v_add_lshl_u32 v8, v8, v25, 2
	s_nop 0
	v_cndmask_b32_e64 v2, v2, v7, s[0:1]
	ds_bpermute_b32 v7, v8, v2
	v_cmp_gt_u32_e64 s[0:1], 12, v4
	s_nop 1
	v_cndmask_b32_e64 v8, 0, 4, s[0:1]
	s_waitcnt lgkmcnt(0)
	v_cmp_gt_f32_e64 s[0:1], v2, v7
	v_add_lshl_u32 v8, v8, v25, 2
	s_nop 0
	v_cndmask_b32_e64 v2, v2, v7, s[0:1]
	ds_bpermute_b32 v7, v8, v2
	s_waitcnt lgkmcnt(0)
	v_cmp_gt_f32_e64 s[0:1], v2, v7
	s_nop 1
	v_cndmask_b32_e64 v2, v2, v7, s[0:1]
	ds_bpermute_b32 v7, v3, v2
	s_waitcnt lgkmcnt(0)
	v_cmp_gt_f32_e64 s[0:1], v2, v7
	s_nop 1
	v_cndmask_b32_e64 v2, v2, v7, s[0:1]
.LBB2_126:                              ;   in Loop: Header=BB2_14 Depth=1
	s_or_b64 exec, exec, s[42:43]
	v_mov_b32_dpp v7, v1 quad_perm:[1,0,3,2] row_mask:0xf bank_mask:0xf bound_ctrl:1
	v_cmp_gt_f32_e64 s[0:1], v1, v7
	s_nop 1
	v_cndmask_b32_e64 v1, v7, v1, s[0:1]
	s_nop 1
	v_mov_b32_dpp v7, v1 quad_perm:[2,3,0,1] row_mask:0xf bank_mask:0xf bound_ctrl:1
	v_cmp_gt_f32_e64 s[0:1], v1, v7
	s_nop 1
	v_cndmask_b32_e64 v1, v7, v1, s[0:1]
	s_nop 1
	v_mov_b32_dpp v7, v1 row_ror:4 row_mask:0xf bank_mask:0xf bound_ctrl:1
	v_cmp_gt_f32_e64 s[0:1], v1, v7
	s_nop 1
	v_cndmask_b32_e64 v1, v7, v1, s[0:1]
	s_nop 1
	v_mov_b32_dpp v7, v1 row_ror:8 row_mask:0xf bank_mask:0xf bound_ctrl:1
	v_cmp_gt_f32_e64 s[0:1], v1, v7
	s_nop 1
	v_cndmask_b32_e64 v1, v7, v1, s[0:1]
	s_nop 1
	v_mov_b32_dpp v7, v1 row_bcast:15 row_mask:0xf bank_mask:0xf bound_ctrl:1
	v_cmp_gt_f32_e64 s[0:1], v1, v7
	s_nop 1
	v_cndmask_b32_e64 v1, v7, v1, s[0:1]
	s_nop 1
	v_mov_b32_dpp v7, v1 row_bcast:31 row_mask:0xf bank_mask:0xf bound_ctrl:1
	v_cmp_gt_f32_e64 s[0:1], v1, v7
	s_nop 1
	v_cndmask_b32_e64 v1, v7, v1, s[0:1]
	ds_bpermute_b32 v1, v6, v1
	s_and_saveexec_b64 s[0:1], vcc
	s_cbranch_execz .LBB2_128
; %bb.127:                              ;   in Loop: Header=BB2_14 Depth=1
	s_waitcnt lgkmcnt(0)
	ds_write_b32 v13, v1
.LBB2_128:                              ;   in Loop: Header=BB2_14 Depth=1
	s_or_b64 exec, exec, s[0:1]
	s_waitcnt lgkmcnt(0)
	s_barrier
	s_and_saveexec_b64 s[0:1], s[4:5]
	s_cbranch_execz .LBB2_130
; %bb.129:                              ;   in Loop: Header=BB2_14 Depth=1
	ds_read_b32 v1, v5 offset:25472
	v_cmp_ne_u32_e32 vcc, 15, v4
	s_nop 1
	v_addc_co_u32_e32 v5, vcc, 0, v25, vcc
	v_lshlrev_b32_e32 v5, 2, v5
	s_waitcnt lgkmcnt(0)
	ds_bpermute_b32 v5, v5, v1
	v_cmp_gt_u32_e32 vcc, 14, v4
	s_nop 1
	v_cndmask_b32_e64 v6, 0, 2, vcc
	s_waitcnt lgkmcnt(0)
	v_cmp_lt_f32_e32 vcc, v1, v5
	v_add_lshl_u32 v6, v6, v25, 2
	s_nop 0
	v_cndmask_b32_e32 v1, v1, v5, vcc
	ds_bpermute_b32 v5, v6, v1
	v_cmp_gt_u32_e32 vcc, 12, v4
	s_nop 1
	v_cndmask_b32_e64 v4, 0, 4, vcc
	s_waitcnt lgkmcnt(0)
	v_cmp_lt_f32_e32 vcc, v1, v5
	v_add_lshl_u32 v4, v4, v25, 2
	s_nop 0
	v_cndmask_b32_e32 v1, v1, v5, vcc
	ds_bpermute_b32 v4, v4, v1
	s_waitcnt lgkmcnt(0)
	v_cmp_lt_f32_e32 vcc, v1, v4
	s_nop 1
	v_cndmask_b32_e32 v1, v1, v4, vcc
	ds_bpermute_b32 v3, v3, v1
	s_waitcnt lgkmcnt(0)
	v_cmp_lt_f32_e32 vcc, v1, v3
	s_nop 1
	v_cndmask_b32_e32 v1, v1, v3, vcc
.LBB2_130:                              ;   in Loop: Header=BB2_14 Depth=1
	s_or_b64 exec, exec, s[0:1]
	s_and_saveexec_b64 s[0:1], s[12:13]
	s_cbranch_execz .LBB2_132
; %bb.131:                              ;   in Loop: Header=BB2_14 Depth=1
	v_cmp_gt_f32_e32 vcc, 0, v2
	s_nop 1
	v_cndmask_b32_e64 v3, v26, 0, vcc
	v_cmp_gt_f32_e32 vcc, 0, v1
	v_xor_b32_e32 v2, v3, v2
	v_xor_b32_e32 v1, v2, v1
	v_cndmask_b32_e64 v4, v26, 0, vcc
	v_xor_b32_e32 v1, v1, v4
	v_cmp_gt_u32_e32 vcc, s67, v1
	s_nop 1
	v_cndmask_b32_e64 v1, 0, 1, vcc
	ds_write_b8 v12, v1 offset:25536
.LBB2_132:                              ;   in Loop: Header=BB2_14 Depth=1
	s_or_b64 exec, exec, s[0:1]
	s_waitcnt lgkmcnt(0)
	s_barrier
	ds_read_u8 v1, v12 offset:25536
	s_waitcnt lgkmcnt(0)
	v_readfirstlane_b32 s0, v1
	s_bitcmp1_b32 s0, 0
	s_cselect_b64 s[44:45], -1, 0
.LBB2_133:                              ;   in Loop: Header=BB2_14 Depth=1
	s_and_b64 s[0:1], s[44:45], exec
	s_cselect_b32 s30, 0x800, 0
	s_waitcnt lgkmcnt(0)
	v_or_b32_e32 v1, s30, v0
	v_lshlrev_b32_e32 v1, 2, v1
	v_add_u32_e32 v2, 0x280, v1
	v_mov_b32_e32 v3, s29
	s_barrier
	flat_load_dword v6, v[2:3] sc0 sc1
	s_waitcnt vmcnt(0)
	v_add_u32_e32 v4, 0x1280, v1
	v_mov_b32_e32 v5, s29
	flat_load_dword v1, v[4:5] sc0 sc1
	s_waitcnt vmcnt(0) lgkmcnt(0)
	ds_write_b32 v10, v6
	ds_write_b32 v11, v1 offset:4096
	s_waitcnt lgkmcnt(0)
	s_barrier
	ds_read2_b32 v[6:7], v27 offset1:1
	s_waitcnt lgkmcnt(0)
	s_barrier
	v_add_u32_e32 v1, v7, v6
	ds_write_b32 v10, v1
	s_waitcnt lgkmcnt(0)
	s_barrier
	s_and_saveexec_b64 s[0:1], s[4:5]
	s_cbranch_execz .LBB2_135
; %bb.134:                              ;   in Loop: Header=BB2_14 Depth=1
	ds_read2_b32 v[28:29], v24 offset1:1
	ds_read2_b32 v[30:31], v24 offset0:2 offset1:3
	ds_read2_b32 v[32:33], v24 offset0:4 offset1:5
	;; [unrolled: 1-line block ×3, first 2 shown]
	s_waitcnt lgkmcnt(3)
	v_add_u32_e32 v8, v29, v28
	s_waitcnt lgkmcnt(2)
	v_add3_u32 v8, v8, v30, v31
	s_waitcnt lgkmcnt(1)
	v_add3_u32 v8, v8, v32, v33
	ds_read2_b32 v[30:31], v24 offset0:8 offset1:9
	ds_read2_b32 v[32:33], v24 offset0:10 offset1:11
	;; [unrolled: 1-line block ×4, first 2 shown]
	s_waitcnt lgkmcnt(4)
	v_add3_u32 v8, v8, v34, v35
	s_waitcnt lgkmcnt(3)
	v_add3_u32 v8, v8, v30, v31
	;; [unrolled: 2-line block ×5, first 2 shown]
	v_and_b32_e32 v29, 15, v25
	v_cmp_ne_u32_e32 vcc, 0, v29
	v_mov_b32_dpp v30, v8 row_shr:1 row_mask:0xf bank_mask:0xf
	s_nop 0
	v_cndmask_b32_e32 v30, 0, v30, vcc
	v_add_u32_e32 v8, v30, v8
	v_cmp_lt_u32_e32 vcc, 1, v29
	; wave barrier
	s_nop 0
	v_mov_b32_dpp v30, v8 row_shr:2 row_mask:0xf bank_mask:0xf
	v_cndmask_b32_e32 v30, 0, v30, vcc
	v_add_u32_e32 v8, v8, v30
	v_cmp_lt_u32_e32 vcc, 3, v29
	s_nop 0
	v_mov_b32_dpp v30, v8 row_shr:4 row_mask:0xf bank_mask:0xf
	v_cndmask_b32_e32 v30, 0, v30, vcc
	v_add_u32_e32 v8, v8, v30
	v_cmp_lt_u32_e32 vcc, 7, v29
	s_nop 0
	v_mov_b32_dpp v30, v8 row_shr:8 row_mask:0xf bank_mask:0xf
	v_cndmask_b32_e32 v29, 0, v30, vcc
	v_add_u32_e32 v8, v8, v29
	v_bfe_i32 v30, v25, 4, 1
	v_cmp_lt_u32_e32 vcc, 31, v25
	v_mov_b32_dpp v29, v8 row_bcast:15 row_mask:0xf bank_mask:0xf
	v_and_b32_e32 v29, v30, v29
	v_add_u32_e32 v8, v8, v29
	v_and_b32_e32 v30, 64, v25
	s_nop 0
	v_mov_b32_dpp v29, v8 row_bcast:31 row_mask:0xf bank_mask:0xf
	v_cndmask_b32_e32 v29, 0, v29, vcc
	v_add_u32_e32 v8, v8, v29
	v_add_u32_e32 v29, -1, v25
	v_cmp_lt_i32_e32 vcc, v29, v30
	s_nop 1
	v_cndmask_b32_e32 v29, v29, v25, vcc
	v_lshlrev_b32_e32 v29, 2, v29
	ds_bpermute_b32 v8, v29, v8
	s_waitcnt lgkmcnt(0)
	v_add_u32_e32 v8, v8, v28
	v_cndmask_b32_e64 v8, v8, v1, s[12:13]
	ds_write_b32 v24, v8
	; wave barrier
	ds_read2_b32 v[28:29], v24 offset0:1 offset1:2
	ds_read2_b32 v[30:31], v24 offset0:3 offset1:4
	;; [unrolled: 1-line block ×4, first 2 shown]
	s_waitcnt lgkmcnt(3)
	v_add_u32_e32 v8, v28, v8
	v_add_u32_e32 v28, v29, v8
	ds_write2_b32 v24, v8, v28 offset0:1 offset1:2
	s_waitcnt lgkmcnt(3)
	v_add_u32_e32 v8, v30, v28
	v_add_u32_e32 v28, v31, v8
	ds_write2_b32 v24, v8, v28 offset0:3 offset1:4
	;; [unrolled: 4-line block ×3, first 2 shown]
	s_waitcnt lgkmcnt(3)
	v_add_u32_e32 v8, v34, v28
	ds_read2_b32 v[28:29], v24 offset0:9 offset1:10
	v_add_u32_e32 v34, v35, v8
	ds_write2_b32 v24, v8, v34 offset0:7 offset1:8
	ds_read2_b32 v[30:31], v24 offset0:11 offset1:12
	ds_read2_b32 v[32:33], v24 offset0:13 offset1:14
	ds_read_b32 v8, v24 offset:60
	s_waitcnt lgkmcnt(4)
	v_add_u32_e32 v28, v28, v34
	v_add_u32_e32 v29, v29, v28
	ds_write2_b32 v24, v28, v29 offset0:9 offset1:10
	s_waitcnt lgkmcnt(3)
	v_add_u32_e32 v28, v30, v29
	v_add_u32_e32 v29, v31, v28
	ds_write2_b32 v24, v28, v29 offset0:11 offset1:12
	s_waitcnt lgkmcnt(3)
	v_add_u32_e32 v28, v32, v29
	v_add_u32_e32 v29, v33, v28
	s_waitcnt lgkmcnt(2)
	v_add_u32_e32 v8, v8, v29
	ds_write2_b32 v24, v28, v29 offset0:13 offset1:14
	ds_write_b32 v24, v8 offset:60
.LBB2_135:                              ;   in Loop: Header=BB2_14 Depth=1
	s_or_b64 exec, exec, s[0:1]
	v_mov_b32_e32 v8, v6
	s_waitcnt lgkmcnt(0)
	s_barrier
	s_and_saveexec_b64 s[0:1], s[14:15]
	s_cbranch_execz .LBB2_137
; %bb.136:                              ;   in Loop: Header=BB2_14 Depth=1
	ds_read_b32 v1, v14
	;;#ASMSTART
	;;#ASMEND
	s_waitcnt lgkmcnt(0)
	v_add_u32_e32 v8, v1, v6
	v_add_u32_e32 v1, v8, v7
.LBB2_137:                              ;   in Loop: Header=BB2_14 Depth=1
	s_or_b64 exec, exec, s[0:1]
	s_barrier
	ds_write2_b32 v27, v8, v1 offset1:1
	s_waitcnt lgkmcnt(0)
	s_barrier
	ds_read_b32 v1, v10
	ds_read_b32 v6, v11 offset:4096
	s_and_b64 s[0:1], s[44:45], exec
	s_waitcnt lgkmcnt(1)
	flat_store_dword v[2:3], v1 sc0 sc1
	s_waitcnt vmcnt(0) lgkmcnt(0)
	flat_store_dword v[4:5], v6 sc0 sc1
	s_waitcnt vmcnt(0) lgkmcnt(0)
	s_barrier
	s_cselect_b32 s0, 3, 0
	ds_read_b32 v1, v12 offset:12
	s_add_i32 s0, s0, s68
	s_mul_i32 s0, s0, -11
	s_max_i32 s46, s0, 0xffffffeb
	s_add_i32 s46, s46, 21
	v_lshl_add_u32 v2, s30, 2, v19
	s_mov_b64 s[42:43], 0
	v_mov_b32_e32 v3, v0
	s_branch .LBB2_139
.LBB2_138:                              ;   in Loop: Header=BB2_139 Depth=2
	s_or_b64 exec, exec, s[0:1]
	v_add_u32_e32 v3, s60, v3
	v_cmp_lt_u32_e32 vcc, s66, v3
	s_or_b64 s[42:43], vcc, s[42:43]
	v_add_u32_e32 v2, s64, v2
	s_andn2_b64 exec, exec, s[42:43]
	s_cbranch_execz .LBB2_143
.LBB2_139:                              ;   Parent Loop BB2_14 Depth=1
                                        ; =>  This Inner Loop Header: Depth=2
	v_mov_b32_e32 v4, 0
	v_cmp_ne_u32_e32 vcc, 0, v3
	s_and_saveexec_b64 s[0:1], vcc
; %bb.140:                              ;   in Loop: Header=BB2_139 Depth=2
	ds_read_b32 v4, v2
; %bb.141:                              ;   in Loop: Header=BB2_139 Depth=2
	s_or_b64 exec, exec, s[0:1]
	ds_read_b32 v5, v2 offset:4
	s_waitcnt lgkmcnt(1)
	v_cmp_gt_i32_e32 vcc, s69, v4
	s_waitcnt lgkmcnt(0)
	v_cmp_le_i32_e64 s[0:1], s69, v5
	s_and_b64 s[48:49], vcc, s[0:1]
	s_and_saveexec_b64 s[0:1], s[48:49]
	s_cbranch_execz .LBB2_138
; %bb.142:                              ;   in Loop: Header=BB2_139 Depth=2
	v_sub_u32_e32 v5, v5, v4
	v_sub_u32_e32 v4, s69, v4
	v_lshl_or_b32 v1, v3, s46, v1
	ds_write_b64 v12, v[4:5]
	ds_write_b32 v12, v1 offset:12
	s_branch .LBB2_138
.LBB2_143:                              ;   in Loop: Header=BB2_14 Depth=1
	s_or_b64 exec, exec, s[42:43]
	s_and_saveexec_b64 s[0:1], s[12:13]
; %bb.144:                              ;   in Loop: Header=BB2_14 Depth=1
	v_mov_b32_e32 v1, s63
	ds_write_b32 v12, v1 offset:8
; %bb.145:                              ;   in Loop: Header=BB2_14 Depth=1
	s_or_b64 exec, exec, s[0:1]
	s_cmp_lg_u32 s68, 2
	s_cselect_b64 s[42:43], -1, 0
	s_xor_b64 s[46:47], s[44:45], -1
	s_and_b64 s[42:43], s[42:43], s[46:47]
	s_mov_b64 s[0:1], -1
	s_and_b64 vcc, exec, s[42:43]
	s_mov_b64 s[42:43], -1
	s_waitcnt lgkmcnt(0)
	s_barrier
                                        ; implicit-def: $vgpr3
	s_cbranch_vccz .LBB2_13
; %bb.146:                              ;   in Loop: Header=BB2_14 Depth=1
	ds_read_b64 v[2:3], v12
	s_add_i32 s68, s68, 1
	s_mov_b64 s[0:1], 0
	s_waitcnt lgkmcnt(0)
	v_cmp_eq_u32_e64 s[42:43], v3, v2
	s_branch .LBB2_13
.LBB2_147:
	s_andn2_b64 vcc, exec, s[0:1]
	s_mov_b64 s[0:1], -1
	s_cbranch_vccz .LBB2_181
; %bb.148:
	v_mov_b32_e32 v1, 0
	ds_read_b32 v1, v1 offset:12
	s_and_b64 s[0:1], s[24:25], exec
	s_cselect_b32 s0, 0, s2
	s_cselect_b32 s1, 0, s3
	s_cmp_eq_u64 s[26:27], 0
	s_cselect_b32 s7, s23, s1
	s_cselect_b32 s6, s22, s0
	;; [unrolled: 1-line block ×5, first 2 shown]
	s_cmp_eq_u64 s[6:7], 0
	v_cmp_gt_i32_e64 s[0:1], s34, v0
	s_cbranch_scc1 .LBB2_164
; %bb.149:
	s_and_saveexec_b64 s[8:9], s[0:1]
	s_cbranch_execz .LBB2_163
; %bb.150:
	s_lshl_b32 s35, -1, s62
	s_mov_b64 s[10:11], 0
	v_bfrev_b32_e32 v2, -2
	v_mov_b32_e32 v6, 0
	v_mov_b32_e32 v4, v0
	s_branch .LBB2_153
.LBB2_151:                              ;   in Loop: Header=BB2_153 Depth=1
	s_or_b64 exec, exec, s[14:15]
	v_lshl_add_u64 v[10:11], v[4:5], 2, s[6:7]
	global_load_dword v5, v[10:11], off
	s_waitcnt lgkmcnt(0)
	v_readfirstlane_b32 s14, v9
	s_nop 1
	v_add_u32_e32 v8, s14, v8
	v_ashrrev_i32_e32 v9, 31, v8
	v_lshlrev_b64 v[8:9], 2, v[8:9]
	v_lshl_add_u64 v[10:11], s[16:17], 0, v[8:9]
	v_lshl_add_u64 v[8:9], s[18:19], 0, v[8:9]
	global_store_dword v[10:11], v7, off
	s_waitcnt vmcnt(1)
	global_store_dword v[8:9], v5, off
.LBB2_152:                              ;   in Loop: Header=BB2_153 Depth=1
	s_or_b64 exec, exec, s[12:13]
	v_add_u32_e32 v4, s60, v4
	v_cmp_le_i32_e32 vcc, s34, v4
	s_or_b64 s[10:11], vcc, s[10:11]
	s_andn2_b64 exec, exec, s[10:11]
	s_cbranch_execz .LBB2_163
.LBB2_153:                              ; =>This Inner Loop Header: Depth=1
	v_ashrrev_i32_e32 v5, 31, v4
	s_waitcnt vmcnt(0)
	v_lshl_add_u64 v[8:9], v[4:5], 2, s[4:5]
	global_load_dword v7, v[8:9], off
	s_waitcnt vmcnt(0)
	v_cmp_gt_f32_e32 vcc, 0, v7
	s_nop 1
	v_cndmask_b32_e64 v8, v2, 0, vcc
	v_bitop3_b32 v8, v8, s35, v7 bitop3:0x48
	s_waitcnt lgkmcnt(0)
	v_cmp_ge_u32_e32 vcc, v8, v1
	s_and_saveexec_b64 s[12:13], vcc
	s_xor_b64 s[12:13], exec, s[12:13]
	s_cbranch_execz .LBB2_160
; %bb.154:                              ;   in Loop: Header=BB2_153 Depth=1
	v_cmp_eq_u32_e32 vcc, v8, v1
	s_and_saveexec_b64 s[14:15], vcc
	s_cbranch_execz .LBB2_159
; %bb.155:                              ;   in Loop: Header=BB2_153 Depth=1
	v_lshl_add_u64 v[8:9], v[4:5], 2, s[6:7]
	global_load_dword v8, v[8:9], off
	s_mov_b64 s[28:29], exec
	v_mbcnt_lo_u32_b32 v9, s28, 0
	v_mbcnt_hi_u32_b32 v9, s29, v9
	v_cmp_eq_u32_e32 vcc, 0, v9
                                        ; implicit-def: $vgpr10
	s_and_saveexec_b64 s[30:31], vcc
; %bb.156:                              ;   in Loop: Header=BB2_153 Depth=1
	s_bcnt1_i32_b64 s28, s[28:29]
	v_mov_b32_e32 v10, s28
	ds_add_rtn_u32 v10, v6, v10 offset:512
; %bb.157:                              ;   in Loop: Header=BB2_153 Depth=1
	s_or_b64 exec, exec, s[30:31]
	s_waitcnt lgkmcnt(0)
	v_readfirstlane_b32 s28, v10
	s_nop 1
	v_add_u32_e32 v9, s28, v9
	v_cmp_lt_i32_e32 vcc, v9, v3
	s_and_b64 exec, exec, vcc
	s_cbranch_execz .LBB2_159
; %bb.158:                              ;   in Loop: Header=BB2_153 Depth=1
	v_xad_u32 v10, v9, -1, s33
	v_ashrrev_i32_e32 v11, 31, v10
	v_lshlrev_b64 v[10:11], 2, v[10:11]
	v_lshl_add_u64 v[12:13], s[16:17], 0, v[10:11]
	v_lshl_add_u64 v[10:11], s[18:19], 0, v[10:11]
	global_store_dword v[12:13], v7, off
	s_waitcnt vmcnt(1)
	global_store_dword v[10:11], v8, off
.LBB2_159:                              ;   in Loop: Header=BB2_153 Depth=1
	s_or_b64 exec, exec, s[14:15]
                                        ; implicit-def: $vgpr7
.LBB2_160:                              ;   in Loop: Header=BB2_153 Depth=1
	s_andn2_saveexec_b64 s[12:13], s[12:13]
	s_cbranch_execz .LBB2_152
; %bb.161:                              ;   in Loop: Header=BB2_153 Depth=1
	s_mov_b64 s[28:29], exec
	s_waitcnt vmcnt(0)
	v_mbcnt_lo_u32_b32 v8, s28, 0
	v_mbcnt_hi_u32_b32 v8, s29, v8
	v_cmp_eq_u32_e32 vcc, 0, v8
                                        ; implicit-def: $vgpr9
	s_and_saveexec_b64 s[14:15], vcc
	s_cbranch_execz .LBB2_151
; %bb.162:                              ;   in Loop: Header=BB2_153 Depth=1
	s_bcnt1_i32_b64 s28, s[28:29]
	v_mov_b32_e32 v9, s28
	ds_add_rtn_u32 v9, v6, v9 offset:384
	s_branch .LBB2_151
.LBB2_163:
	s_or_b64 exec, exec, s[8:9]
	s_cbranch_execz .LBB2_165
	s_branch .LBB2_180
.LBB2_164:
.LBB2_165:
	s_and_saveexec_b64 s[6:7], s[0:1]
	s_cbranch_execz .LBB2_179
; %bb.166:
	s_lshl_b32 s28, -1, s62
	s_mov_b64 s[0:1], 0
	v_bfrev_b32_e32 v2, -2
	v_mov_b32_e32 v6, 0
	v_mov_b32_e32 v4, v0
	s_branch .LBB2_169
.LBB2_167:                              ;   in Loop: Header=BB2_169 Depth=1
	s_or_b64 exec, exec, s[10:11]
	s_waitcnt lgkmcnt(0)
	v_readfirstlane_b32 s10, v8
	s_nop 1
	v_add_u32_e32 v8, s10, v7
	v_ashrrev_i32_e32 v9, 31, v8
	v_lshlrev_b64 v[8:9], 2, v[8:9]
	v_lshl_add_u64 v[10:11], s[16:17], 0, v[8:9]
	v_lshl_add_u64 v[8:9], s[18:19], 0, v[8:9]
	global_store_dword v[10:11], v5, off
	global_store_dword v[8:9], v4, off
.LBB2_168:                              ;   in Loop: Header=BB2_169 Depth=1
	s_or_b64 exec, exec, s[8:9]
	v_add_u32_e32 v4, s60, v4
	v_cmp_le_i32_e32 vcc, s34, v4
	s_or_b64 s[0:1], vcc, s[0:1]
	s_andn2_b64 exec, exec, s[0:1]
	s_cbranch_execz .LBB2_179
.LBB2_169:                              ; =>This Inner Loop Header: Depth=1
	v_ashrrev_i32_e32 v5, 31, v4
	s_waitcnt vmcnt(0)
	v_lshl_add_u64 v[8:9], v[4:5], 2, s[4:5]
	global_load_dword v5, v[8:9], off
	s_waitcnt vmcnt(0)
	v_cmp_gt_f32_e32 vcc, 0, v5
	s_nop 1
	v_cndmask_b32_e64 v7, v2, 0, vcc
	v_bitop3_b32 v7, v7, s28, v5 bitop3:0x48
	s_waitcnt lgkmcnt(0)
	v_cmp_ge_u32_e32 vcc, v7, v1
	s_and_saveexec_b64 s[8:9], vcc
	s_xor_b64 s[8:9], exec, s[8:9]
	s_cbranch_execz .LBB2_176
; %bb.170:                              ;   in Loop: Header=BB2_169 Depth=1
	v_cmp_eq_u32_e32 vcc, v7, v1
	s_and_saveexec_b64 s[10:11], vcc
	s_cbranch_execz .LBB2_175
; %bb.171:                              ;   in Loop: Header=BB2_169 Depth=1
	s_mov_b64 s[14:15], exec
	v_mbcnt_lo_u32_b32 v7, s14, 0
	v_mbcnt_hi_u32_b32 v7, s15, v7
	v_cmp_eq_u32_e32 vcc, 0, v7
                                        ; implicit-def: $vgpr8
	s_and_saveexec_b64 s[12:13], vcc
; %bb.172:                              ;   in Loop: Header=BB2_169 Depth=1
	s_bcnt1_i32_b64 s14, s[14:15]
	v_mov_b32_e32 v8, s14
	ds_add_rtn_u32 v8, v6, v8 offset:512
; %bb.173:                              ;   in Loop: Header=BB2_169 Depth=1
	s_or_b64 exec, exec, s[12:13]
	s_waitcnt lgkmcnt(0)
	v_readfirstlane_b32 s12, v8
	s_nop 1
	v_add_u32_e32 v7, s12, v7
	v_cmp_lt_i32_e32 vcc, v7, v3
	s_and_b64 exec, exec, vcc
	s_cbranch_execz .LBB2_175
; %bb.174:                              ;   in Loop: Header=BB2_169 Depth=1
	v_xad_u32 v8, v7, -1, s33
	v_ashrrev_i32_e32 v9, 31, v8
	v_lshlrev_b64 v[8:9], 2, v[8:9]
	v_lshl_add_u64 v[10:11], s[16:17], 0, v[8:9]
	v_lshl_add_u64 v[8:9], s[18:19], 0, v[8:9]
	global_store_dword v[10:11], v5, off
	global_store_dword v[8:9], v4, off
.LBB2_175:                              ;   in Loop: Header=BB2_169 Depth=1
	s_or_b64 exec, exec, s[10:11]
                                        ; implicit-def: $vgpr5
.LBB2_176:                              ;   in Loop: Header=BB2_169 Depth=1
	s_andn2_saveexec_b64 s[8:9], s[8:9]
	s_cbranch_execz .LBB2_168
; %bb.177:                              ;   in Loop: Header=BB2_169 Depth=1
	s_mov_b64 s[12:13], exec
	v_mbcnt_lo_u32_b32 v7, s12, 0
	v_mbcnt_hi_u32_b32 v7, s13, v7
	v_cmp_eq_u32_e32 vcc, 0, v7
                                        ; implicit-def: $vgpr8
	s_and_saveexec_b64 s[10:11], vcc
	s_cbranch_execz .LBB2_167
; %bb.178:                              ;   in Loop: Header=BB2_169 Depth=1
	s_bcnt1_i32_b64 s12, s[12:13]
	v_mov_b32_e32 v8, s12
	ds_add_rtn_u32 v8, v6, v8 offset:384
	s_branch .LBB2_167
.LBB2_179:
	s_or_b64 exec, exec, s[6:7]
.LBB2_180:
	s_mov_b64 s[0:1], 0
.LBB2_181:
	s_andn2_b64 vcc, exec, s[0:1]
	s_cbranch_vccnz .LBB2_221
; %bb.182:
	s_waitcnt lgkmcnt(0)
	v_mov_b32_e32 v1, 0
	s_xor_b64 s[4:5], s[44:45], -1
	ds_read2_b32 v[2:3], v1 offset1:3
	s_and_b64 s[0:1], s[24:25], exec
	s_cselect_b32 s0, 0, s2
	s_cselect_b32 s1, 0, s3
	s_cmp_eq_u64 s[26:27], 0
	s_cselect_b32 s9, s23, s1
	s_cselect_b32 s8, s22, s0
	s_cselect_b32 s24, s61, s63
	s_cselect_b32 s7, s21, s27
	s_cselect_b32 s6, s20, s26
	s_cmp_eq_u64 s[8:9], 0
	v_cmp_gt_i32_e64 s[0:1], s24, v0
	s_cbranch_scc1 .LBB2_202
; %bb.183:
	s_and_saveexec_b64 s[10:11], s[0:1]
	s_cbranch_execz .LBB2_201
; %bb.184:
	s_lshl_b32 s25, -1, s62
	s_mov_b64 s[12:13], 0
	s_movk_i32 s26, 0x7ff
	v_mov_b32_e32 v1, 0
	v_bfrev_b32_e32 v6, -2
	v_mov_b32_e32 v7, 0x7ff
	v_mov_b32_e32 v4, v0
	s_branch .LBB2_187
.LBB2_185:                              ;   in Loop: Header=BB2_187 Depth=1
	s_or_b64 exec, exec, s[14:15]
	v_lshl_add_u64 v[12:13], v[4:5], 2, s[8:9]
	global_load_dword v5, v[12:13], off
	s_waitcnt lgkmcnt(0)
	v_readfirstlane_b32 s14, v10
	s_nop 1
	v_add_u32_e32 v10, s14, v9
	v_ashrrev_i32_e32 v11, 31, v10
	v_lshlrev_b64 v[10:11], 2, v[10:11]
	v_lshl_add_u64 v[12:13], s[16:17], 0, v[10:11]
	global_store_dword v[12:13], v8, off
	v_lshl_add_u64 v[8:9], s[18:19], 0, v[10:11]
	s_waitcnt vmcnt(1)
	global_store_dword v[8:9], v5, off
.LBB2_186:                              ;   in Loop: Header=BB2_187 Depth=1
	s_or_b64 exec, exec, s[2:3]
	v_add_u32_e32 v4, s60, v4
	v_cmp_le_i32_e32 vcc, s24, v4
	s_or_b64 s[12:13], vcc, s[12:13]
	s_andn2_b64 exec, exec, s[12:13]
	s_cbranch_execz .LBB2_201
.LBB2_187:                              ; =>This Inner Loop Header: Depth=1
	v_ashrrev_i32_e32 v5, 31, v4
	s_waitcnt vmcnt(0)
	v_lshl_add_u64 v[8:9], v[4:5], 2, s[6:7]
	global_load_dword v8, v[8:9], off
	s_mov_b64 s[14:15], -1
	s_and_b64 vcc, exec, s[4:5]
                                        ; implicit-def: $vgpr9
	s_waitcnt vmcnt(0)
	v_cmp_gt_f32_e64 s[2:3], 0, v8
	s_cbranch_vccnz .LBB2_191
; %bb.188:                              ;   in Loop: Header=BB2_187 Depth=1
	s_andn2_b64 vcc, exec, s[14:15]
	s_cbranch_vccz .LBB2_192
.LBB2_189:                              ;   in Loop: Header=BB2_187 Depth=1
	s_waitcnt lgkmcnt(0)
	v_cmp_ge_u32_e32 vcc, v9, v3
	s_and_saveexec_b64 s[2:3], vcc
	s_xor_b64 s[2:3], exec, s[2:3]
	s_cbranch_execnz .LBB2_193
.LBB2_190:                              ;   in Loop: Header=BB2_187 Depth=1
	s_andn2_saveexec_b64 s[2:3], s[2:3]
	s_cbranch_execz .LBB2_186
	s_branch .LBB2_199
.LBB2_191:                              ;   in Loop: Header=BB2_187 Depth=1
	s_nop 0
	v_cndmask_b32_e64 v9, v6, 0, s[2:3]
	v_bitop3_b32 v9, v9, s25, v8 bitop3:0x48
	s_cbranch_execnz .LBB2_189
.LBB2_192:                              ;   in Loop: Header=BB2_187 Depth=1
	v_cndmask_b32_e64 v9, v7, 0, s[2:3]
	v_bitop3_b32 v9, v9, v8, s26 bitop3:0x78
	s_waitcnt lgkmcnt(0)
	v_cmp_ge_u32_e32 vcc, v9, v3
	s_and_saveexec_b64 s[2:3], vcc
	s_xor_b64 s[2:3], exec, s[2:3]
	s_cbranch_execz .LBB2_190
.LBB2_193:                              ;   in Loop: Header=BB2_187 Depth=1
	v_cmp_eq_u32_e32 vcc, v9, v3
	s_and_saveexec_b64 s[14:15], vcc
	s_cbranch_execz .LBB2_198
; %bb.194:                              ;   in Loop: Header=BB2_187 Depth=1
	v_lshl_add_u64 v[10:11], v[4:5], 2, s[8:9]
	global_load_dword v9, v[10:11], off
	s_mov_b64 s[20:21], exec
	v_mbcnt_lo_u32_b32 v10, s20, 0
	v_mbcnt_hi_u32_b32 v10, s21, v10
	v_cmp_eq_u32_e32 vcc, 0, v10
                                        ; implicit-def: $vgpr11
	s_and_saveexec_b64 s[22:23], vcc
; %bb.195:                              ;   in Loop: Header=BB2_187 Depth=1
	s_bcnt1_i32_b64 s20, s[20:21]
	v_mov_b32_e32 v11, s20
	ds_add_rtn_u32 v11, v1, v11 offset:512
; %bb.196:                              ;   in Loop: Header=BB2_187 Depth=1
	s_or_b64 exec, exec, s[22:23]
	s_waitcnt lgkmcnt(0)
	v_readfirstlane_b32 s20, v11
	s_nop 1
	v_add_u32_e32 v10, s20, v10
	v_cmp_lt_i32_e32 vcc, v10, v2
	s_and_b64 exec, exec, vcc
	s_cbranch_execz .LBB2_198
; %bb.197:                              ;   in Loop: Header=BB2_187 Depth=1
	v_xad_u32 v10, v10, -1, s33
	v_ashrrev_i32_e32 v11, 31, v10
	v_lshlrev_b64 v[10:11], 2, v[10:11]
	v_lshl_add_u64 v[12:13], s[16:17], 0, v[10:11]
	v_lshl_add_u64 v[10:11], s[18:19], 0, v[10:11]
	global_store_dword v[12:13], v8, off
	s_waitcnt vmcnt(1)
	global_store_dword v[10:11], v9, off
.LBB2_198:                              ;   in Loop: Header=BB2_187 Depth=1
	s_or_b64 exec, exec, s[14:15]
                                        ; implicit-def: $vgpr8
	s_andn2_saveexec_b64 s[2:3], s[2:3]
	s_cbranch_execz .LBB2_186
.LBB2_199:                              ;   in Loop: Header=BB2_187 Depth=1
	s_mov_b64 s[20:21], exec
	s_waitcnt vmcnt(0)
	v_mbcnt_lo_u32_b32 v9, s20, 0
	v_mbcnt_hi_u32_b32 v9, s21, v9
	v_cmp_eq_u32_e32 vcc, 0, v9
                                        ; implicit-def: $vgpr10
	s_and_saveexec_b64 s[14:15], vcc
	s_cbranch_execz .LBB2_185
; %bb.200:                              ;   in Loop: Header=BB2_187 Depth=1
	s_bcnt1_i32_b64 s20, s[20:21]
	v_mov_b32_e32 v10, s20
	ds_add_rtn_u32 v10, v1, v10 offset:384
	s_branch .LBB2_185
.LBB2_201:
	s_or_b64 exec, exec, s[10:11]
	s_cbranch_execz .LBB2_203
	s_branch .LBB2_221
.LBB2_202:
.LBB2_203:
	s_and_saveexec_b64 s[2:3], s[0:1]
	s_cbranch_execz .LBB2_221
; %bb.204:
	s_lshl_b32 s14, -1, s62
	s_mov_b64 s[2:3], 0
	s_movk_i32 s15, 0x7ff
	v_mov_b32_e32 v4, 0
	v_bfrev_b32_e32 v5, -2
	v_mov_b32_e32 v6, 0x7ff
	s_branch .LBB2_207
.LBB2_205:                              ;   in Loop: Header=BB2_207 Depth=1
	s_or_b64 exec, exec, s[8:9]
	s_waitcnt lgkmcnt(0)
	v_readfirstlane_b32 s8, v8
	s_nop 1
	v_add_u32_e32 v8, s8, v7
	v_ashrrev_i32_e32 v9, 31, v8
	v_lshlrev_b64 v[8:9], 2, v[8:9]
	v_lshl_add_u64 v[10:11], s[16:17], 0, v[8:9]
	v_lshl_add_u64 v[8:9], s[18:19], 0, v[8:9]
	global_store_dword v[10:11], v1, off
	global_store_dword v[8:9], v0, off
.LBB2_206:                              ;   in Loop: Header=BB2_207 Depth=1
	s_or_b64 exec, exec, s[0:1]
	v_add_u32_e32 v0, s60, v0
	v_cmp_le_i32_e32 vcc, s24, v0
	s_or_b64 s[2:3], vcc, s[2:3]
	s_andn2_b64 exec, exec, s[2:3]
	s_cbranch_execz .LBB2_221
.LBB2_207:                              ; =>This Inner Loop Header: Depth=1
	v_ashrrev_i32_e32 v1, 31, v0
	s_waitcnt vmcnt(0)
	v_lshl_add_u64 v[8:9], v[0:1], 2, s[6:7]
	global_load_dword v1, v[8:9], off
	s_mov_b64 s[8:9], -1
	s_and_b64 vcc, exec, s[4:5]
                                        ; implicit-def: $vgpr7
	s_waitcnt vmcnt(0)
	v_cmp_gt_f32_e64 s[0:1], 0, v1
	s_cbranch_vccnz .LBB2_211
; %bb.208:                              ;   in Loop: Header=BB2_207 Depth=1
	s_andn2_b64 vcc, exec, s[8:9]
	s_cbranch_vccz .LBB2_212
.LBB2_209:                              ;   in Loop: Header=BB2_207 Depth=1
	s_waitcnt lgkmcnt(0)
	v_cmp_ge_u32_e32 vcc, v7, v3
	s_and_saveexec_b64 s[0:1], vcc
	s_xor_b64 s[0:1], exec, s[0:1]
	s_cbranch_execnz .LBB2_213
.LBB2_210:                              ;   in Loop: Header=BB2_207 Depth=1
	s_andn2_saveexec_b64 s[0:1], s[0:1]
	s_cbranch_execz .LBB2_206
	s_branch .LBB2_219
.LBB2_211:                              ;   in Loop: Header=BB2_207 Depth=1
	s_nop 0
	v_cndmask_b32_e64 v7, v5, 0, s[0:1]
	v_bitop3_b32 v7, v7, s14, v1 bitop3:0x48
	s_cbranch_execnz .LBB2_209
.LBB2_212:                              ;   in Loop: Header=BB2_207 Depth=1
	v_cndmask_b32_e64 v7, v6, 0, s[0:1]
	v_bitop3_b32 v7, v7, v1, s15 bitop3:0x78
	s_waitcnt lgkmcnt(0)
	v_cmp_ge_u32_e32 vcc, v7, v3
	s_and_saveexec_b64 s[0:1], vcc
	s_xor_b64 s[0:1], exec, s[0:1]
	s_cbranch_execz .LBB2_210
.LBB2_213:                              ;   in Loop: Header=BB2_207 Depth=1
	v_cmp_eq_u32_e32 vcc, v7, v3
	s_and_saveexec_b64 s[8:9], vcc
	s_cbranch_execz .LBB2_218
; %bb.214:                              ;   in Loop: Header=BB2_207 Depth=1
	s_mov_b64 s[12:13], exec
	v_mbcnt_lo_u32_b32 v7, s12, 0
	v_mbcnt_hi_u32_b32 v7, s13, v7
	v_cmp_eq_u32_e32 vcc, 0, v7
                                        ; implicit-def: $vgpr8
	s_and_saveexec_b64 s[10:11], vcc
; %bb.215:                              ;   in Loop: Header=BB2_207 Depth=1
	s_bcnt1_i32_b64 s12, s[12:13]
	v_mov_b32_e32 v8, s12
	ds_add_rtn_u32 v8, v4, v8 offset:512
; %bb.216:                              ;   in Loop: Header=BB2_207 Depth=1
	s_or_b64 exec, exec, s[10:11]
	s_waitcnt lgkmcnt(0)
	v_readfirstlane_b32 s10, v8
	s_nop 1
	v_add_u32_e32 v7, s10, v7
	v_cmp_lt_i32_e32 vcc, v7, v2
	s_and_b64 exec, exec, vcc
	s_cbranch_execz .LBB2_218
; %bb.217:                              ;   in Loop: Header=BB2_207 Depth=1
	v_xad_u32 v8, v7, -1, s33
	v_ashrrev_i32_e32 v9, 31, v8
	v_lshlrev_b64 v[8:9], 2, v[8:9]
	v_lshl_add_u64 v[10:11], s[16:17], 0, v[8:9]
	v_lshl_add_u64 v[8:9], s[18:19], 0, v[8:9]
	global_store_dword v[10:11], v1, off
	global_store_dword v[8:9], v0, off
.LBB2_218:                              ;   in Loop: Header=BB2_207 Depth=1
	s_or_b64 exec, exec, s[8:9]
                                        ; implicit-def: $vgpr1
	s_andn2_saveexec_b64 s[0:1], s[0:1]
	s_cbranch_execz .LBB2_206
.LBB2_219:                              ;   in Loop: Header=BB2_207 Depth=1
	s_mov_b64 s[10:11], exec
	v_mbcnt_lo_u32_b32 v7, s10, 0
	v_mbcnt_hi_u32_b32 v7, s11, v7
	v_cmp_eq_u32_e32 vcc, 0, v7
                                        ; implicit-def: $vgpr8
	s_and_saveexec_b64 s[8:9], vcc
	s_cbranch_execz .LBB2_205
; %bb.220:                              ;   in Loop: Header=BB2_207 Depth=1
	s_bcnt1_i32_b64 s10, s[10:11]
	v_mov_b32_e32 v8, s10
	ds_add_rtn_u32 v8, v4, v8 offset:384
	s_branch .LBB2_205
.LBB2_221:
	s_endpgm
	.section	.rodata,"a",@progbits
	.p2align	6, 0x0
	.amdhsa_kernel _Z27radix_topk_one_block_kernelIfiLi11ELi1024ELb1ELb0EL5Phase0EEvPKT_PKT0_lS6_S6_S4_PS1_PS4_bPci
		.amdhsa_group_segment_fixed_size 25540
		.amdhsa_private_segment_fixed_size 0
		.amdhsa_kernarg_size 344
		.amdhsa_user_sgpr_count 2
		.amdhsa_user_sgpr_dispatch_ptr 0
		.amdhsa_user_sgpr_queue_ptr 0
		.amdhsa_user_sgpr_kernarg_segment_ptr 1
		.amdhsa_user_sgpr_dispatch_id 0
		.amdhsa_user_sgpr_kernarg_preload_length 0
		.amdhsa_user_sgpr_kernarg_preload_offset 0
		.amdhsa_user_sgpr_private_segment_size 0
		.amdhsa_uses_dynamic_stack 0
		.amdhsa_enable_private_segment 0
		.amdhsa_system_sgpr_workgroup_id_x 1
		.amdhsa_system_sgpr_workgroup_id_y 0
		.amdhsa_system_sgpr_workgroup_id_z 0
		.amdhsa_system_sgpr_workgroup_info 0
		.amdhsa_system_vgpr_workitem_id 0
		.amdhsa_next_free_vgpr 40
		.amdhsa_next_free_sgpr 73
		.amdhsa_accum_offset 40
		.amdhsa_reserve_vcc 1
		.amdhsa_float_round_mode_32 0
		.amdhsa_float_round_mode_16_64 0
		.amdhsa_float_denorm_mode_32 3
		.amdhsa_float_denorm_mode_16_64 3
		.amdhsa_dx10_clamp 1
		.amdhsa_ieee_mode 1
		.amdhsa_fp16_overflow 0
		.amdhsa_tg_split 0
		.amdhsa_exception_fp_ieee_invalid_op 0
		.amdhsa_exception_fp_denorm_src 0
		.amdhsa_exception_fp_ieee_div_zero 0
		.amdhsa_exception_fp_ieee_overflow 0
		.amdhsa_exception_fp_ieee_underflow 0
		.amdhsa_exception_fp_ieee_inexact 0
		.amdhsa_exception_int_div_zero 0
	.end_amdhsa_kernel
	.section	.text._Z27radix_topk_one_block_kernelIfiLi11ELi1024ELb1ELb0EL5Phase0EEvPKT_PKT0_lS6_S6_S4_PS1_PS4_bPci,"axG",@progbits,_Z27radix_topk_one_block_kernelIfiLi11ELi1024ELb1ELb0EL5Phase0EEvPKT_PKT0_lS6_S6_S4_PS1_PS4_bPci,comdat
.Lfunc_end2:
	.size	_Z27radix_topk_one_block_kernelIfiLi11ELi1024ELb1ELb0EL5Phase0EEvPKT_PKT0_lS6_S6_S4_PS1_PS4_bPci, .Lfunc_end2-_Z27radix_topk_one_block_kernelIfiLi11ELi1024ELb1ELb0EL5Phase0EEvPKT_PKT0_lS6_S6_S4_PS1_PS4_bPci
                                        ; -- End function
	.set _Z27radix_topk_one_block_kernelIfiLi11ELi1024ELb1ELb0EL5Phase0EEvPKT_PKT0_lS6_S6_S4_PS1_PS4_bPci.num_vgpr, 40
	.set _Z27radix_topk_one_block_kernelIfiLi11ELi1024ELb1ELb0EL5Phase0EEvPKT_PKT0_lS6_S6_S4_PS1_PS4_bPci.num_agpr, 0
	.set _Z27radix_topk_one_block_kernelIfiLi11ELi1024ELb1ELb0EL5Phase0EEvPKT_PKT0_lS6_S6_S4_PS1_PS4_bPci.numbered_sgpr, 73
	.set _Z27radix_topk_one_block_kernelIfiLi11ELi1024ELb1ELb0EL5Phase0EEvPKT_PKT0_lS6_S6_S4_PS1_PS4_bPci.num_named_barrier, 0
	.set _Z27radix_topk_one_block_kernelIfiLi11ELi1024ELb1ELb0EL5Phase0EEvPKT_PKT0_lS6_S6_S4_PS1_PS4_bPci.private_seg_size, 0
	.set _Z27radix_topk_one_block_kernelIfiLi11ELi1024ELb1ELb0EL5Phase0EEvPKT_PKT0_lS6_S6_S4_PS1_PS4_bPci.uses_vcc, 1
	.set _Z27radix_topk_one_block_kernelIfiLi11ELi1024ELb1ELb0EL5Phase0EEvPKT_PKT0_lS6_S6_S4_PS1_PS4_bPci.uses_flat_scratch, 0
	.set _Z27radix_topk_one_block_kernelIfiLi11ELi1024ELb1ELb0EL5Phase0EEvPKT_PKT0_lS6_S6_S4_PS1_PS4_bPci.has_dyn_sized_stack, 0
	.set _Z27radix_topk_one_block_kernelIfiLi11ELi1024ELb1ELb0EL5Phase0EEvPKT_PKT0_lS6_S6_S4_PS1_PS4_bPci.has_recursion, 0
	.set _Z27radix_topk_one_block_kernelIfiLi11ELi1024ELb1ELb0EL5Phase0EEvPKT_PKT0_lS6_S6_S4_PS1_PS4_bPci.has_indirect_call, 0
	.section	.AMDGPU.csdata,"",@progbits
; Kernel info:
; codeLenInByte = 7676
; TotalNumSgprs: 79
; NumVgprs: 40
; NumAgprs: 0
; TotalNumVgprs: 40
; ScratchSize: 0
; MemoryBound: 0
; FloatMode: 240
; IeeeMode: 1
; LDSByteSize: 25540 bytes/workgroup (compile time only)
; SGPRBlocks: 9
; VGPRBlocks: 4
; NumSGPRsForWavesPerEU: 79
; NumVGPRsForWavesPerEU: 40
; AccumOffset: 40
; Occupancy: 8
; WaveLimiterHint : 0
; COMPUTE_PGM_RSRC2:SCRATCH_EN: 0
; COMPUTE_PGM_RSRC2:USER_SGPR: 2
; COMPUTE_PGM_RSRC2:TRAP_HANDLER: 0
; COMPUTE_PGM_RSRC2:TGID_X_EN: 1
; COMPUTE_PGM_RSRC2:TGID_Y_EN: 0
; COMPUTE_PGM_RSRC2:TGID_Z_EN: 0
; COMPUTE_PGM_RSRC2:TIDIG_COMP_CNT: 0
; COMPUTE_PGM_RSRC3_GFX90A:ACCUM_OFFSET: 9
; COMPUTE_PGM_RSRC3_GFX90A:TG_SPLIT: 0
	.section	.text._Z27radix_topk_one_block_kernelIfiLi11ELi1024ELb0ELb0EL5Phase0EEvPKT_PKT0_lS6_S6_S4_PS1_PS4_bPci,"axG",@progbits,_Z27radix_topk_one_block_kernelIfiLi11ELi1024ELb0ELb0EL5Phase0EEvPKT_PKT0_lS6_S6_S4_PS1_PS4_bPci,comdat
	.protected	_Z27radix_topk_one_block_kernelIfiLi11ELi1024ELb0ELb0EL5Phase0EEvPKT_PKT0_lS6_S6_S4_PS1_PS4_bPci ; -- Begin function _Z27radix_topk_one_block_kernelIfiLi11ELi1024ELb0ELb0EL5Phase0EEvPKT_PKT0_lS6_S6_S4_PS1_PS4_bPci
	.globl	_Z27radix_topk_one_block_kernelIfiLi11ELi1024ELb0ELb0EL5Phase0EEvPKT_PKT0_lS6_S6_S4_PS1_PS4_bPci
	.p2align	8
	.type	_Z27radix_topk_one_block_kernelIfiLi11ELi1024ELb0ELb0EL5Phase0EEvPKT_PKT0_lS6_S6_S4_PS1_PS4_bPci,@function
_Z27radix_topk_one_block_kernelIfiLi11ELi1024ELb0ELb0EL5Phase0EEvPKT_PKT0_lS6_S6_S4_PS1_PS4_bPci: ; @_Z27radix_topk_one_block_kernelIfiLi11ELi1024ELb0ELb0EL5Phase0EEvPKT_PKT0_lS6_S6_S4_PS1_PS4_bPci
; %bb.0:
	s_load_dwordx8 s[16:23], s[0:1], 0x0
	s_load_dwordx2 s[4:5], s[0:1], 0x20
	s_mov_b32 s3, 0
	s_mov_b32 s28, s3
	s_waitcnt lgkmcnt(0)
	s_cmp_eq_u64 s[22:23], 0
	s_cselect_b64 s[6:7], -1, 0
	s_cmp_eq_u64 s[4:5], 0
	s_cselect_b64 s[8:9], -1, 0
	s_or_b64 s[6:7], s[6:7], s[8:9]
	s_and_b64 vcc, exec, s[6:7]
	s_mov_b32 s6, s20
	s_cbranch_vccnz .LBB3_2
; %bb.1:
	s_lshl_b64 s[6:7], s[2:3], 2
	s_add_u32 s4, s4, s6
	s_addc_u32 s5, s5, s7
	s_add_u32 s8, s22, s6
	s_addc_u32 s9, s23, s7
	s_load_dword s28, s[8:9], 0x0
	s_load_dword s6, s[4:5], 0x0
.LBB3_2:
	s_load_dword s33, s[0:1], 0x28
	s_waitcnt lgkmcnt(0)
	s_sub_i32 s59, s6, s28
	v_cmp_ne_u32_e64 s[14:15], 0, v0
	v_cmp_eq_u32_e64 s[12:13], 0, v0
	s_and_saveexec_b64 s[4:5], s[12:13]
	s_cbranch_execz .LBB3_4
; %bb.3:
	v_mov_b32_e32 v5, 0
	v_mov_b32_e32 v2, s33
	;; [unrolled: 1-line block ×4, first 2 shown]
	ds_write_b128 v5, v[2:5]
	ds_write2_b32 v5, v5, v5 offset0:96 offset1:128
.LBB3_4:
	s_or_b64 exec, exec, s[4:5]
	s_load_dwordx2 s[8:9], s[0:1], 0x38
	s_ashr_i32 s3, s33, 31
	s_mul_hi_u32 s4, s33, s2
	s_mul_i32 s3, s3, s2
	s_add_i32 s5, s4, s3
	s_mul_i32 s4, s33, s2
	s_lshl_b64 s[10:11], s[4:5], 2
	s_waitcnt lgkmcnt(0)
	s_add_u32 s22, s8, s10
	s_addc_u32 s23, s9, s11
	s_cmp_gt_i32 s59, s33
	s_mov_b64 s[4:5], -1
	s_barrier
	s_cbranch_scc1 .LBB3_14
; %bb.5:
	v_cmp_gt_i32_e32 vcc, s33, v0
	s_and_saveexec_b64 s[6:7], vcc
	s_cbranch_execz .LBB3_13
; %bb.6:
	v_xad_u32 v1, v0, -1, s33
	s_movk_i32 s3, 0x3ff
	v_cmp_lt_u32_e32 vcc, s3, v1
	v_mov_b32_e32 v2, v0
	s_and_saveexec_b64 s[24:25], vcc
	s_cbranch_execz .LBB3_10
; %bb.7:
	v_lshrrev_b32_e32 v1, 10, v1
	v_add_u32_e32 v6, 1, v1
	v_and_b32_e32 v7, 0x7ffffe, v6
	v_or_b32_e32 v1, 0x400, v0
	s_mov_b32 s3, s59
	s_mov_b32 s29, s28
	s_mov_b64 s[26:27], 0
	v_mov_b32_e32 v3, 0
	v_mov_b32_e32 v8, v7
	v_mov_b64_e32 v[4:5], v[0:1]
.LBB3_8:                                ; =>This Inner Loop Header: Depth=1
	v_add_u32_e32 v1, s28, v4
	v_cmp_gt_i32_e32 vcc, s59, v4
	v_mov_b32_e32 v2, v4
	v_add_u32_e32 v8, -2, v8
	v_add_u32_e32 v9, s29, v5
	v_cmp_gt_i32_e64 s[4:5], s3, v5
	v_cndmask_b32_e32 v1, -1, v1, vcc
	v_lshl_add_u64 v[10:11], v[2:3], 2, s[22:23]
	v_mov_b32_e32 v2, v5
	v_cmp_eq_u32_e32 vcc, 0, v8
	v_add_u32_e32 v4, 0x800, v4
	v_cndmask_b32_e64 v9, -1, v9, s[4:5]
	v_add_u32_e32 v5, 0x800, v5
	v_lshl_add_u64 v[12:13], v[2:3], 2, s[22:23]
	s_or_b64 s[26:27], vcc, s[26:27]
	global_store_dword v[10:11], v1, off
	global_store_dword v[12:13], v9, off
	s_andn2_b64 exec, exec, s[26:27]
	s_cbranch_execnz .LBB3_8
; %bb.9:
	s_or_b64 exec, exec, s[26:27]
	v_cmp_ne_u32_e32 vcc, v6, v7
	v_lshl_or_b32 v2, v7, 10, v0
	s_orn2_b64 s[4:5], vcc, exec
.LBB3_10:
	s_or_b64 exec, exec, s[24:25]
	s_and_b64 exec, exec, s[4:5]
	s_cbranch_execz .LBB3_13
; %bb.11:
	s_add_u32 s4, s8, s10
	v_mov_b32_e32 v3, 0
	s_addc_u32 s5, s9, s11
	v_lshl_add_u64 v[4:5], v[2:3], 2, s[4:5]
	s_mov_b64 s[4:5], 0
	s_mov_b64 s[8:9], 0x1000
.LBB3_12:                               ; =>This Inner Loop Header: Depth=1
	v_add_u32_e32 v1, s28, v2
	v_cmp_gt_i32_e32 vcc, s59, v2
	v_add_u32_e32 v2, 0x400, v2
	s_nop 0
	v_cndmask_b32_e32 v1, -1, v1, vcc
	v_cmp_le_i32_e32 vcc, s33, v2
	global_store_dword v[4:5], v1, off
	s_or_b64 s[4:5], vcc, s[4:5]
	v_lshl_add_u64 v[4:5], v[4:5], 0, s[8:9]
	s_andn2_b64 exec, exec, s[4:5]
	s_cbranch_execnz .LBB3_12
.LBB3_13:
	s_or_b64 exec, exec, s[6:7]
	s_mov_b64 s[4:5], 0
.LBB3_14:
	s_andn2_b64 vcc, exec, s[4:5]
	s_cbranch_vccnz .LBB3_236
; %bb.15:
	s_mul_i32 s3, s21, s2
	s_mul_hi_u32 s4, s20, s2
	s_add_i32 s5, s4, s3
	s_mul_i32 s4, s20, s2
	s_lshl_b64 s[4:5], s[4:5], 2
	s_add_u32 s24, s16, s4
	s_addc_u32 s25, s17, s5
	s_add_u32 s3, s18, s4
	s_addc_u32 s4, s19, s5
	s_cmp_lg_u64 s[18:19], 0
	s_cselect_b32 s17, s4, 0
	s_load_dwordx2 s[4:5], s[0:1], 0x48
	s_load_dword s6, s[0:1], 0x64
	s_mov_b64 s[26:27], src_shared_base
	s_cselect_b32 s16, s3, 0
	s_lshr_b32 s3, s20, 5
	s_and_b32 s26, s3, 0x7ffffc0
	s_mul_hi_u32 s3, s2, s26
	s_mul_i32 s2, s2, s26
	s_lshl_b64 s[0:1], s[2:3], 4
	s_waitcnt lgkmcnt(0)
	s_add_u32 s30, s4, s0
	s_addc_u32 s31, s5, s1
	s_and_b32 s58, s6, 0xffff
	v_lshrrev_b32_e32 v1, 3, v0
	s_cmp_eq_u32 s58, 1
	v_and_b32_e32 v1, 0x7c, v1
	v_lshlrev_b32_e32 v9, 2, v0
	s_movk_i32 s2, 0x4280
	s_cselect_b64 s[0:1], -1, 0
	v_add3_u32 v10, v9, v1, s2
	v_or_b32_e32 v1, 0x400, v0
	s_lshl_b32 s3, s26, 3
	v_add_u32_e32 v5, -1, v0
	v_lshrrev_b32_e32 v1, 3, v1
	s_add_u32 s34, s30, s3
	v_lshrrev_b32_e32 v6, 3, v5
	v_and_b32_e32 v1, 0xfc, v1
	s_addc_u32 s35, s31, 0
	s_lshl_b32 s3, s26, 2
	v_and_b32_e32 v6, 0x1ffffffc, v6
	v_lshlrev_b32_e32 v5, 2, v5
	v_add3_u32 v11, v1, v9, s2
	v_lshrrev_b32_e32 v1, 4, v0
	v_mov_b32_e32 v2, 0x4280
	s_sub_u32 s6, 0, s3
	v_mov_b32_e32 v4, 0x6380
	v_add3_u32 v14, v6, v5, s2
	v_sub_u32_e32 v6, 0xffe, v0
	v_lshl_add_u32 v2, v1, 2, v2
	s_subb_u32 s7, 0, 0
	v_and_or_b32 v13, v1, 60, v4
	v_lshlrev_b32_e32 v1, 1, v0
	v_sub_u32_e32 v5, 0x1000, v0
	v_lshrrev_b32_e32 v6, 1, v6
	s_add_u32 s36, s34, s6
	v_and_b32_e32 v1, 0x7fc, v1
	v_add_u32_e32 v6, 1, v6
	v_and_b32_e32 v7, 0x1ffe, v5
	s_addc_u32 s37, s35, s7
	v_add_u32_e32 v1, 0x4280, v1
	v_lshlrev_b32_e32 v4, 6, v0
	v_cmp_ne_u32_e64 s[8:9], v5, v7
	v_lshlrev_b32_e32 v5, 1, v6
	v_lshlrev_b32_e32 v3, 3, v0
	s_add_u32 s38, s34, s3
	v_add_u32_e32 v15, v0, v7
	v_and_b32_e32 v8, 7, v6
	v_and_b32_e32 v17, 0x1ff0, v5
	v_cndmask_b32_e64 v5, 0, 1, s[0:1]
	v_add_u32_e32 v24, v1, v4
	v_mbcnt_lo_u32_b32 v1, -1, 0
	s_mov_b32 s29, 0
	v_cmp_gt_u32_e64 s[4:5], 64, v0
	s_addc_u32 s39, s35, 0
	v_mov_b32_e32 v12, 0
	v_cmp_ne_u32_e64 s[6:7], 0, v8
	v_add_u32_e32 v16, 0x280, v9
	v_lshlrev_b32_e32 v18, 3, v8
	s_lshl_b32 s62, s58, 2
	v_add_u32_e32 v19, 0x27c, v9
	v_lshlrev_b32_e32 v20, 2, v15
	s_movk_i32 s63, 0xfff
	v_bfrev_b32_e32 v21, -2
	v_mov_b32_e32 v22, 1
	s_movk_i32 s64, 0x7ff
	v_lshlrev_b32_e32 v23, 2, v0
	s_movk_i32 s65, 0x800
	v_cmp_ne_u32_e64 s[10:11], 1, v5
	v_mbcnt_hi_u32_b32 v25, -1, v1
	v_mov_b32_e32 v26, 0x7ffff800
	v_add_u32_e32 v27, v2, v3
	s_mov_b32 s66, 0
	s_branch .LBB3_17
.LBB3_16:                               ;   in Loop: Header=BB3_17 Depth=1
	s_andn2_b64 vcc, exec, s[40:41]
	s_cbranch_vccz .LBB3_150
.LBB3_17:                               ; =>This Loop Header: Depth=1
                                        ;     Child Loop BB3_24 Depth 2
                                        ;     Child Loop BB3_27 Depth 2
                                        ;     Child Loop BB3_33 Depth 2
                                        ;     Child Loop BB3_43 Depth 2
                                        ;     Child Loop BB3_60 Depth 2
                                        ;     Child Loop BB3_74 Depth 2
                                        ;     Child Loop BB3_81 Depth 2
                                        ;     Child Loop BB3_142 Depth 2
	s_mov_b64 s[44:45], 0
	s_cmp_lt_i32 s66, 1
	s_mov_b64 s[0:1], s[24:25]
	s_mov_b64 s[42:43], 0
	;; [unrolled: 1-line block ×3, first 2 shown]
	s_cbranch_scc1 .LBB3_22
; %bb.18:                               ;   in Loop: Header=BB3_17 Depth=1
	s_cmp_lg_u32 s66, 1
	s_mov_b64 s[0:1], -1
	s_cbranch_scc0 .LBB3_20
; %bb.19:                               ;   in Loop: Header=BB3_17 Depth=1
	s_mov_b64 s[0:1], 0
.LBB3_20:                               ;   in Loop: Header=BB3_17 Depth=1
	s_andn2_b64 vcc, exec, s[0:1]
	s_mov_b64 s[2:3], s[38:39]
	s_mov_b64 s[42:43], s[36:37]
	;; [unrolled: 1-line block ×4, first 2 shown]
	s_cbranch_vccnz .LBB3_22
; %bb.21:                               ;   in Loop: Header=BB3_17 Depth=1
	s_mov_b64 s[2:3], s[34:35]
	s_mov_b64 s[42:43], s[30:31]
	;; [unrolled: 1-line block ×4, first 2 shown]
.LBB3_22:                               ;   in Loop: Header=BB3_17 Depth=1
	ds_read_b96 v[2:4], v12
	s_mov_b64 s[18:19], -1
	s_and_b64 vcc, exec, s[10:11]
	v_mov_b32_e32 v1, v0
	s_waitcnt lgkmcnt(0)
	v_readfirstlane_b32 s67, v2
	v_readfirstlane_b32 s61, v3
	;; [unrolled: 1-line block ×3, first 2 shown]
	v_mov_b32_e32 v2, v9
	s_cbranch_vccnz .LBB3_31
; %bb.23:                               ;   in Loop: Header=BB3_17 Depth=1
	s_mov_b32 s20, 0
	s_mov_b64 s[18:19], 0
	v_mov_b32_e32 v1, v16
.LBB3_24:                               ;   Parent Loop BB3_17 Depth=1
                                        ; =>  This Inner Loop Header: Depth=2
	s_add_i32 s20, s20, 16
	v_cmp_eq_u32_e32 vcc, s20, v17
	ds_write2_b32 v1, v12, v12 offset1:1
	ds_write2_b32 v1, v12, v12 offset0:2 offset1:3
	ds_write2_b32 v1, v12, v12 offset0:4 offset1:5
	ds_write2_b32 v1, v12, v12 offset0:6 offset1:7
	ds_write2_b32 v1, v12, v12 offset0:8 offset1:9
	ds_write2_b32 v1, v12, v12 offset0:10 offset1:11
	ds_write2_b32 v1, v12, v12 offset0:12 offset1:13
	ds_write2_b32 v1, v12, v12 offset0:14 offset1:15
	s_or_b64 s[18:19], vcc, s[18:19]
	v_add_u32_e32 v1, 64, v1
	s_andn2_b64 exec, exec, s[18:19]
	s_cbranch_execnz .LBB3_24
; %bb.25:                               ;   in Loop: Header=BB3_17 Depth=1
	s_or_b64 exec, exec, s[18:19]
	s_and_saveexec_b64 s[18:19], s[6:7]
	s_cbranch_execz .LBB3_28
; %bb.26:                               ;   in Loop: Header=BB3_17 Depth=1
	s_mov_b32 s40, 0
	s_mov_b64 s[20:21], 0
.LBB3_27:                               ;   Parent Loop BB3_17 Depth=1
                                        ; =>  This Inner Loop Header: Depth=2
	v_add_u32_e32 v2, s40, v1
	s_add_i32 s40, s40, 8
	v_cmp_eq_u32_e32 vcc, s40, v18
	s_or_b64 s[20:21], vcc, s[20:21]
	ds_write2_b32 v2, v12, v12 offset1:1
	s_andn2_b64 exec, exec, s[20:21]
	s_cbranch_execnz .LBB3_27
.LBB3_28:                               ;   in Loop: Header=BB3_17 Depth=1
	s_or_b64 exec, exec, s[18:19]
	s_mov_b64 s[18:19], 0
	s_and_saveexec_b64 s[20:21], s[8:9]
; %bb.29:                               ;   in Loop: Header=BB3_17 Depth=1
	s_mov_b64 s[18:19], exec
; %bb.30:                               ;   in Loop: Header=BB3_17 Depth=1
	s_or_b64 exec, exec, s[20:21]
	v_mov_b32_e32 v1, v15
	v_mov_b32_e32 v2, v20
.LBB3_31:                               ;   in Loop: Header=BB3_17 Depth=1
	s_and_saveexec_b64 s[20:21], s[18:19]
	s_cbranch_execz .LBB3_34
; %bb.32:                               ;   in Loop: Header=BB3_17 Depth=1
	v_add_u32_e32 v2, 0x280, v2
	s_mov_b64 s[18:19], 0
.LBB3_33:                               ;   Parent Loop BB3_17 Depth=1
                                        ; =>  This Inner Loop Header: Depth=2
	v_add_u32_e32 v1, s58, v1
	v_cmp_lt_u32_e32 vcc, s63, v1
	ds_write_b32 v2, v12
	s_or_b64 s[18:19], vcc, s[18:19]
	v_add_u32_e32 v2, s62, v2
	s_andn2_b64 exec, exec, s[18:19]
	s_cbranch_execnz .LBB3_33
.LBB3_34:                               ;   in Loop: Header=BB3_17 Depth=1
	s_or_b64 exec, exec, s[20:21]
	s_and_saveexec_b64 s[18:19], s[12:13]
; %bb.35:                               ;   in Loop: Header=BB3_17 Depth=1
	ds_write_b32 v12, v12 offset:128
; %bb.36:                               ;   in Loop: Header=BB3_17 Depth=1
	s_or_b64 exec, exec, s[18:19]
	s_cmp_gt_i32 s28, s26
	s_cselect_b64 s[46:47], -1, 0
	s_cmp_gt_i32 s61, s26
	s_cselect_b64 s[18:19], -1, 0
	s_and_b64 s[20:21], s[46:47], exec
	s_cselect_b32 s41, s25, s1
	s_cselect_b32 s40, s24, s0
	;; [unrolled: 1-line block ×3, first 2 shown]
	s_and_b64 s[0:1], s[18:19], exec
	s_mul_i32 s28, s66, -11
	s_cselect_b32 s21, 0, s43
	s_cselect_b32 s20, 0, s42
	s_max_i32 s60, s28, 0xffffffeb
	s_add_i32 s60, s60, 21
	s_add_i32 s28, s28, 32
	s_sub_i32 s0, s28, s60
	s_lshl_b32 s0, -1, s0
	s_not_b32 s68, s0
	s_cmp_lg_u32 s66, 0
	s_waitcnt lgkmcnt(0)
	s_barrier
	s_cbranch_scc0 .LBB3_52
; %bb.37:                               ;   in Loop: Header=BB3_17 Depth=1
	ds_read_b32 v1, v12 offset:12
	s_cmp_lg_u64 s[20:21], 0
	v_cmp_gt_i32_e64 s[0:1], s69, v0
	s_cbranch_scc0 .LBB3_54
; %bb.38:                               ;   in Loop: Header=BB3_17 Depth=1
	s_and_b64 s[46:47], s[46:47], exec
	s_cselect_b32 s45, s17, s45
	s_cselect_b32 s44, s16, s44
	s_cmp_eq_u64 s[44:45], 0
	s_cbranch_scc1 .LBB3_55
; %bb.39:                               ;   in Loop: Header=BB3_17 Depth=1
	s_and_saveexec_b64 s[46:47], s[0:1]
	s_cbranch_execz .LBB3_53
; %bb.40:                               ;   in Loop: Header=BB3_17 Depth=1
	s_lshl_b32 s70, -1, s28
	s_mov_b64 s[48:49], 0
	v_mov_b32_e32 v2, v0
	s_branch .LBB3_43
.LBB3_41:                               ;   in Loop: Header=BB3_43 Depth=2
	s_or_b64 exec, exec, s[52:53]
	v_lshl_add_u64 v[28:29], v[2:3], 2, s[44:45]
	global_load_dword v3, v[28:29], off
	s_waitcnt lgkmcnt(0)
	v_readfirstlane_b32 s52, v7
	v_xor_b32_e32 v5, v5, v4
	v_lshrrev_b32_e32 v5, s60, v5
	v_add_u32_e32 v6, s52, v6
	v_ashrrev_i32_e32 v7, 31, v6
	v_lshlrev_b64 v[6:7], 2, v[6:7]
	v_and_b32_e32 v5, s68, v5
	v_lshl_add_u64 v[28:29], s[42:43], 0, v[6:7]
	v_lshl_add_u64 v[6:7], s[2:3], 0, v[6:7]
	global_store_dword v[28:29], v4, off
	s_waitcnt vmcnt(1)
	global_store_dword v[6:7], v3, off
	v_lshlrev_b32_e32 v3, 2, v5
	ds_add_u32 v3, v22 offset:640
.LBB3_42:                               ;   in Loop: Header=BB3_43 Depth=2
	s_or_b64 exec, exec, s[50:51]
	v_add_u32_e32 v2, s58, v2
	v_cmp_le_i32_e32 vcc, s69, v2
	s_or_b64 s[48:49], vcc, s[48:49]
	s_andn2_b64 exec, exec, s[48:49]
	s_cbranch_execz .LBB3_53
.LBB3_43:                               ;   Parent Loop BB3_17 Depth=1
                                        ; =>  This Inner Loop Header: Depth=2
	v_ashrrev_i32_e32 v3, 31, v2
	v_lshl_add_u64 v[4:5], v[2:3], 2, s[40:41]
	global_load_dword v4, v[4:5], off
	s_waitcnt vmcnt(0)
	v_cmp_gt_f32_e32 vcc, 0, v4
	s_nop 1
	v_cndmask_b32_e64 v5, v21, 0, vcc
	v_bitop3_b32 v6, v5, s70, v4 bitop3:0x48
	s_waitcnt lgkmcnt(0)
	v_cmp_ne_u32_e32 vcc, v6, v1
	s_and_saveexec_b64 s[50:51], vcc
	s_xor_b64 s[50:51], exec, s[50:51]
	s_cbranch_execz .LBB3_49
; %bb.44:                               ;   in Loop: Header=BB3_43 Depth=2
	v_cmp_lt_u32_e32 vcc, v6, v1
	s_and_saveexec_b64 s[52:53], vcc
	s_cbranch_execz .LBB3_48
; %bb.45:                               ;   in Loop: Header=BB3_43 Depth=2
	s_mov_b64 s[56:57], exec
	v_mbcnt_lo_u32_b32 v4, s56, 0
	v_mbcnt_hi_u32_b32 v4, s57, v4
	v_cmp_eq_u32_e32 vcc, 0, v4
                                        ; implicit-def: $vgpr5
	s_and_saveexec_b64 s[54:55], vcc
; %bb.46:                               ;   in Loop: Header=BB3_43 Depth=2
	s_bcnt1_i32_b64 s56, s[56:57]
	v_mov_b32_e32 v5, s56
	ds_add_rtn_u32 v5, v12, v5 offset:384
; %bb.47:                               ;   in Loop: Header=BB3_43 Depth=2
	s_or_b64 exec, exec, s[54:55]
	v_lshl_add_u64 v[6:7], v[2:3], 2, s[44:45]
	global_load_dword v6, v[6:7], off
	s_waitcnt lgkmcnt(0)
	v_readfirstlane_b32 s54, v5
	s_nop 1
	v_add_u32_e32 v4, s54, v4
	v_ashrrev_i32_e32 v5, 31, v4
	v_lshl_add_u64 v[4:5], v[4:5], 2, s[22:23]
	s_waitcnt vmcnt(0)
	global_store_dword v[4:5], v6, off
.LBB3_48:                               ;   in Loop: Header=BB3_43 Depth=2
	s_or_b64 exec, exec, s[52:53]
                                        ; implicit-def: $vgpr5
                                        ; implicit-def: $vgpr4
.LBB3_49:                               ;   in Loop: Header=BB3_43 Depth=2
	s_andn2_saveexec_b64 s[50:51], s[50:51]
	s_cbranch_execz .LBB3_42
; %bb.50:                               ;   in Loop: Header=BB3_43 Depth=2
	s_mov_b64 s[54:55], exec
	v_mbcnt_lo_u32_b32 v6, s54, 0
	v_mbcnt_hi_u32_b32 v6, s55, v6
	v_cmp_eq_u32_e32 vcc, 0, v6
                                        ; implicit-def: $vgpr7
	s_and_saveexec_b64 s[52:53], vcc
	s_cbranch_execz .LBB3_41
; %bb.51:                               ;   in Loop: Header=BB3_43 Depth=2
	s_bcnt1_i32_b64 s54, s[54:55]
	v_mov_b32_e32 v7, s54
	ds_add_rtn_u32 v7, v12, v7 offset:128
	s_branch .LBB3_41
.LBB3_52:                               ;   in Loop: Header=BB3_17 Depth=1
	s_mov_b64 s[42:43], 0
	s_branch .LBB3_78
.LBB3_53:                               ;   in Loop: Header=BB3_17 Depth=1
	s_or_b64 exec, exec, s[46:47]
	s_cbranch_execz .LBB3_56
	s_branch .LBB3_70
.LBB3_54:                               ;   in Loop: Header=BB3_17 Depth=1
	s_branch .LBB3_71
.LBB3_55:                               ;   in Loop: Header=BB3_17 Depth=1
.LBB3_56:                               ;   in Loop: Header=BB3_17 Depth=1
	s_and_saveexec_b64 s[44:45], s[0:1]
	s_cbranch_execz .LBB3_69
; %bb.57:                               ;   in Loop: Header=BB3_17 Depth=1
	s_lshl_b32 s54, -1, s28
	s_mov_b64 s[0:1], 0
	v_mov_b32_e32 v2, v0
	s_branch .LBB3_60
.LBB3_58:                               ;   in Loop: Header=BB3_60 Depth=2
	s_or_b64 exec, exec, s[48:49]
	s_waitcnt lgkmcnt(0)
	v_readfirstlane_b32 s48, v6
	v_xor_b32_e32 v8, v4, v3
	s_nop 0
	v_add_u32_e32 v4, s48, v5
	v_ashrrev_i32_e32 v5, 31, v4
	v_lshlrev_b64 v[4:5], 2, v[4:5]
	v_lshl_add_u64 v[6:7], s[42:43], 0, v[4:5]
	global_store_dword v[6:7], v3, off
	v_lshrrev_b32_e32 v3, s60, v8
	v_lshl_add_u64 v[4:5], s[2:3], 0, v[4:5]
	v_and_b32_e32 v3, s68, v3
	global_store_dword v[4:5], v2, off
	v_lshlrev_b32_e32 v3, 2, v3
	ds_add_u32 v3, v22 offset:640
.LBB3_59:                               ;   in Loop: Header=BB3_60 Depth=2
	s_or_b64 exec, exec, s[46:47]
	v_add_u32_e32 v2, s58, v2
	v_cmp_le_i32_e32 vcc, s69, v2
	s_or_b64 s[0:1], vcc, s[0:1]
	s_andn2_b64 exec, exec, s[0:1]
	s_cbranch_execz .LBB3_69
.LBB3_60:                               ;   Parent Loop BB3_17 Depth=1
                                        ; =>  This Inner Loop Header: Depth=2
	v_ashrrev_i32_e32 v3, 31, v2
	v_lshl_add_u64 v[4:5], v[2:3], 2, s[40:41]
	global_load_dword v3, v[4:5], off
	s_waitcnt vmcnt(0)
	v_cmp_gt_f32_e32 vcc, 0, v3
	s_nop 1
	v_cndmask_b32_e64 v4, v21, 0, vcc
	v_bitop3_b32 v5, v4, s54, v3 bitop3:0x48
	s_waitcnt lgkmcnt(0)
	v_cmp_ne_u32_e32 vcc, v5, v1
	s_and_saveexec_b64 s[46:47], vcc
	s_xor_b64 s[46:47], exec, s[46:47]
	s_cbranch_execz .LBB3_66
; %bb.61:                               ;   in Loop: Header=BB3_60 Depth=2
	v_cmp_lt_u32_e32 vcc, v5, v1
	s_and_saveexec_b64 s[48:49], vcc
	s_cbranch_execz .LBB3_65
; %bb.62:                               ;   in Loop: Header=BB3_60 Depth=2
	s_mov_b64 s[52:53], exec
	v_mbcnt_lo_u32_b32 v3, s52, 0
	v_mbcnt_hi_u32_b32 v3, s53, v3
	v_cmp_eq_u32_e32 vcc, 0, v3
                                        ; implicit-def: $vgpr4
	s_and_saveexec_b64 s[50:51], vcc
; %bb.63:                               ;   in Loop: Header=BB3_60 Depth=2
	s_bcnt1_i32_b64 s52, s[52:53]
	v_mov_b32_e32 v4, s52
	ds_add_rtn_u32 v4, v12, v4 offset:384
; %bb.64:                               ;   in Loop: Header=BB3_60 Depth=2
	s_or_b64 exec, exec, s[50:51]
	s_waitcnt lgkmcnt(0)
	v_readfirstlane_b32 s50, v4
	s_nop 1
	v_add_u32_e32 v4, s50, v3
	v_ashrrev_i32_e32 v5, 31, v4
	v_lshl_add_u64 v[4:5], v[4:5], 2, s[22:23]
	global_store_dword v[4:5], v2, off
.LBB3_65:                               ;   in Loop: Header=BB3_60 Depth=2
	s_or_b64 exec, exec, s[48:49]
                                        ; implicit-def: $vgpr4
                                        ; implicit-def: $vgpr3
.LBB3_66:                               ;   in Loop: Header=BB3_60 Depth=2
	s_andn2_saveexec_b64 s[46:47], s[46:47]
	s_cbranch_execz .LBB3_59
; %bb.67:                               ;   in Loop: Header=BB3_60 Depth=2
	s_mov_b64 s[50:51], exec
	v_mbcnt_lo_u32_b32 v5, s50, 0
	v_mbcnt_hi_u32_b32 v5, s51, v5
	v_cmp_eq_u32_e32 vcc, 0, v5
                                        ; implicit-def: $vgpr6
	s_and_saveexec_b64 s[48:49], vcc
	s_cbranch_execz .LBB3_58
; %bb.68:                               ;   in Loop: Header=BB3_60 Depth=2
	s_bcnt1_i32_b64 s50, s[50:51]
	v_mov_b32_e32 v6, s50
	ds_add_rtn_u32 v6, v12, v6 offset:128
	s_branch .LBB3_58
.LBB3_69:                               ;   in Loop: Header=BB3_17 Depth=1
	s_or_b64 exec, exec, s[44:45]
.LBB3_70:                               ;   in Loop: Header=BB3_17 Depth=1
	s_cbranch_execnz .LBB3_77
.LBB3_71:                               ;   in Loop: Header=BB3_17 Depth=1
	v_cmp_gt_i32_e32 vcc, s69, v0
	s_and_saveexec_b64 s[0:1], vcc
	s_cbranch_execz .LBB3_76
; %bb.72:                               ;   in Loop: Header=BB3_17 Depth=1
	s_lshl_b32 s28, -1, s28
	s_mov_b64 s[42:43], 0
	v_mov_b32_e32 v2, v0
	s_branch .LBB3_74
.LBB3_73:                               ;   in Loop: Header=BB3_74 Depth=2
	s_or_b64 exec, exec, s[44:45]
	v_add_u32_e32 v2, s58, v2
	v_cmp_le_i32_e32 vcc, s69, v2
	s_or_b64 s[42:43], vcc, s[42:43]
	s_andn2_b64 exec, exec, s[42:43]
	s_cbranch_execz .LBB3_76
.LBB3_74:                               ;   Parent Loop BB3_17 Depth=1
                                        ; =>  This Inner Loop Header: Depth=2
	v_ashrrev_i32_e32 v3, 31, v2
	v_lshl_add_u64 v[4:5], v[2:3], 2, s[40:41]
	global_load_dword v3, v[4:5], off
	s_waitcnt vmcnt(0)
	v_cmp_gt_f32_e32 vcc, 0, v3
	s_nop 1
	v_cndmask_b32_e64 v4, v21, 0, vcc
	v_bitop3_b32 v5, v4, s28, v3 bitop3:0x48
	s_waitcnt lgkmcnt(0)
	v_cmp_eq_u32_e32 vcc, v5, v1
	s_and_saveexec_b64 s[44:45], vcc
	s_cbranch_execz .LBB3_73
; %bb.75:                               ;   in Loop: Header=BB3_74 Depth=2
	v_xor_b32_e32 v3, v4, v3
	v_lshrrev_b32_e32 v3, s60, v3
	v_and_b32_e32 v3, s68, v3
	v_lshlrev_b32_e32 v3, 2, v3
	ds_add_u32 v3, v22 offset:640
	s_branch .LBB3_73
.LBB3_76:                               ;   in Loop: Header=BB3_17 Depth=1
	s_or_b64 exec, exec, s[0:1]
.LBB3_77:                               ;   in Loop: Header=BB3_17 Depth=1
	s_mov_b64 s[42:43], 0
	s_cbranch_execnz .LBB3_136
.LBB3_78:                               ;   in Loop: Header=BB3_17 Depth=1
	s_and_b32 s28, s40, 15
	s_sub_i32 s0, 16, s28
	s_lshr_b32 s0, s0, 2
	s_cmp_lg_u64 s[28:29], 0
	s_cselect_b32 s0, s0, 0
	s_min_i32 s0, s0, s69
	s_sub_i32 s1, s69, s0
	s_ashr_i32 s28, s1, 31
	s_lshr_b32 s28, s28, 30
	s_add_i32 s1, s1, s28
	s_ashr_i32 s28, s1, 2
	v_cmp_gt_i32_e32 vcc, s28, v0
	s_waitcnt lgkmcnt(0)
	v_mov_b32_e32 v1, 0xff7fffff
	v_mov_b32_e32 v8, 0x7f7fffff
	;; [unrolled: 1-line block ×3, first 2 shown]
	v_mov_b32_e32 v28, -1
                                        ; implicit-def: $vgpr5
	s_and_saveexec_b64 s[42:43], vcc
	s_cbranch_execz .LBB3_106
; %bb.79:                               ;   in Loop: Header=BB3_17 Depth=1
	s_ashr_i32 s1, s0, 31
	s_lshl_b64 s[44:45], s[0:1], 2
	s_add_u32 s44, s40, s44
	s_addc_u32 s45, s41, s45
	v_mov_b32_e32 v29, 0
	v_mov_b32_e32 v28, -1
	v_mov_b32_e32 v8, 0x7f7fffff
	v_mov_b32_e32 v1, 0xff7fffff
	s_mov_b64 s[46:47], 0
	v_mov_b32_e32 v6, v0
	s_branch .LBB3_81
.LBB3_80:                               ;   in Loop: Header=BB3_81 Depth=2
	s_or_b64 exec, exec, s[48:49]
	v_min3_f32 v7, v8, v2, v3
	v_max3_f32 v1, v1, v2, v3
	v_and_b32_e32 v2, 0x7ff, v31
	v_lshlrev_b32_e32 v2, 2, v2
	ds_add_u32 v2, v22 offset:8832
	v_add_u32_e32 v6, s58, v6
	v_cmp_le_i32_e32 vcc, s28, v6
	v_min3_f32 v8, v7, v4, v5
	s_or_b64 s[46:47], vcc, s[46:47]
	v_max3_f32 v1, v1, v4, v5
	s_andn2_b64 exec, exec, s[46:47]
	s_cbranch_execz .LBB3_105
.LBB3_81:                               ;   Parent Loop BB3_17 Depth=1
                                        ; =>  This Inner Loop Header: Depth=2
	v_ashrrev_i32_e32 v7, 31, v6
	v_lshl_add_u64 v[2:3], v[6:7], 4, s[44:45]
	global_load_dwordx4 v[2:5], v[2:3], off
	s_waitcnt vmcnt(0)
	v_cmp_gt_f32_e32 vcc, 0, v2
	s_nop 1
	v_cndmask_b32_e64 v7, v21, 0, vcc
	v_xor_b32_e32 v31, v7, v2
	v_lshrrev_b32_e32 v7, s60, v31
	v_and_b32_e32 v7, s68, v7
	v_cmp_ne_u32_e32 vcc, v7, v28
	s_and_saveexec_b64 s[48:49], vcc
	s_xor_b64 s[48:49], exec, s[48:49]
	s_cbranch_execz .LBB3_85
; %bb.82:                               ;   in Loop: Header=BB3_81 Depth=2
	v_cmp_lt_i32_e32 vcc, 0, v29
	s_and_saveexec_b64 s[50:51], vcc
; %bb.83:                               ;   in Loop: Header=BB3_81 Depth=2
	v_lshlrev_b32_e32 v28, 2, v28
	ds_add_u32 v28, v29 offset:640
; %bb.84:                               ;   in Loop: Header=BB3_81 Depth=2
	s_or_b64 exec, exec, s[50:51]
                                        ; implicit-def: $vgpr29
                                        ; implicit-def: $vgpr28
.LBB3_85:                               ;   in Loop: Header=BB3_81 Depth=2
	s_or_saveexec_b64 s[48:49], s[48:49]
	v_mov_b32_e32 v30, 1
	s_xor_b64 exec, exec, s[48:49]
; %bb.86:                               ;   in Loop: Header=BB3_81 Depth=2
	v_add_u32_e32 v30, 1, v29
	v_mov_b32_e32 v7, v28
; %bb.87:                               ;   in Loop: Header=BB3_81 Depth=2
	s_or_b64 exec, exec, s[48:49]
	v_and_b32_e32 v28, 0x7ff, v31
	v_lshlrev_b32_e32 v28, 2, v28
	v_cmp_gt_f32_e32 vcc, 0, v3
	ds_add_u32 v28, v22 offset:8832
	s_nop 0
	v_cndmask_b32_e64 v28, v21, 0, vcc
	v_xor_b32_e32 v31, v28, v3
	v_lshrrev_b32_e32 v28, s60, v31
	v_and_b32_e32 v28, s68, v28
	v_cmp_ne_u32_e32 vcc, v28, v7
	s_and_saveexec_b64 s[48:49], vcc
	s_xor_b64 s[48:49], exec, s[48:49]
	s_cbranch_execz .LBB3_91
; %bb.88:                               ;   in Loop: Header=BB3_81 Depth=2
	v_cmp_lt_i32_e32 vcc, 0, v30
	s_and_saveexec_b64 s[50:51], vcc
; %bb.89:                               ;   in Loop: Header=BB3_81 Depth=2
	v_lshlrev_b32_e32 v7, 2, v7
	ds_add_u32 v7, v30 offset:640
; %bb.90:                               ;   in Loop: Header=BB3_81 Depth=2
	s_or_b64 exec, exec, s[50:51]
                                        ; implicit-def: $vgpr30
                                        ; implicit-def: $vgpr7
.LBB3_91:                               ;   in Loop: Header=BB3_81 Depth=2
	s_or_saveexec_b64 s[48:49], s[48:49]
	v_mov_b32_e32 v29, 1
	s_xor_b64 exec, exec, s[48:49]
; %bb.92:                               ;   in Loop: Header=BB3_81 Depth=2
	v_add_u32_e32 v29, 1, v30
	v_mov_b32_e32 v28, v7
; %bb.93:                               ;   in Loop: Header=BB3_81 Depth=2
	s_or_b64 exec, exec, s[48:49]
	v_and_b32_e32 v7, 0x7ff, v31
	v_lshlrev_b32_e32 v7, 2, v7
	v_cmp_gt_f32_e32 vcc, 0, v4
	ds_add_u32 v7, v22 offset:8832
	s_nop 0
	v_cndmask_b32_e64 v7, v21, 0, vcc
	v_xor_b32_e32 v31, v7, v4
	v_lshrrev_b32_e32 v7, s60, v31
	v_and_b32_e32 v7, s68, v7
	v_cmp_ne_u32_e32 vcc, v7, v28
	s_and_saveexec_b64 s[48:49], vcc
	s_xor_b64 s[48:49], exec, s[48:49]
	s_cbranch_execz .LBB3_97
; %bb.94:                               ;   in Loop: Header=BB3_81 Depth=2
	v_cmp_lt_i32_e32 vcc, 0, v29
	s_and_saveexec_b64 s[50:51], vcc
; %bb.95:                               ;   in Loop: Header=BB3_81 Depth=2
	v_lshlrev_b32_e32 v28, 2, v28
	ds_add_u32 v28, v29 offset:640
; %bb.96:                               ;   in Loop: Header=BB3_81 Depth=2
	s_or_b64 exec, exec, s[50:51]
                                        ; implicit-def: $vgpr29
                                        ; implicit-def: $vgpr28
.LBB3_97:                               ;   in Loop: Header=BB3_81 Depth=2
	s_or_saveexec_b64 s[48:49], s[48:49]
	v_mov_b32_e32 v30, 1
	s_xor_b64 exec, exec, s[48:49]
; %bb.98:                               ;   in Loop: Header=BB3_81 Depth=2
	v_add_u32_e32 v30, 1, v29
	v_mov_b32_e32 v7, v28
; %bb.99:                               ;   in Loop: Header=BB3_81 Depth=2
	s_or_b64 exec, exec, s[48:49]
	v_and_b32_e32 v28, 0x7ff, v31
	v_lshlrev_b32_e32 v28, 2, v28
	v_cmp_gt_f32_e32 vcc, 0, v5
	ds_add_u32 v28, v22 offset:8832
	s_nop 0
	v_cndmask_b32_e64 v28, v21, 0, vcc
	v_xor_b32_e32 v31, v28, v5
	v_lshrrev_b32_e32 v28, s60, v31
	v_and_b32_e32 v28, s68, v28
	v_cmp_ne_u32_e32 vcc, v28, v7
	s_and_saveexec_b64 s[48:49], vcc
	s_xor_b64 s[48:49], exec, s[48:49]
	s_cbranch_execz .LBB3_103
; %bb.100:                              ;   in Loop: Header=BB3_81 Depth=2
	v_cmp_lt_i32_e32 vcc, 0, v30
	s_and_saveexec_b64 s[50:51], vcc
; %bb.101:                              ;   in Loop: Header=BB3_81 Depth=2
	v_lshlrev_b32_e32 v7, 2, v7
	ds_add_u32 v7, v30 offset:640
; %bb.102:                              ;   in Loop: Header=BB3_81 Depth=2
	s_or_b64 exec, exec, s[50:51]
                                        ; implicit-def: $vgpr30
                                        ; implicit-def: $vgpr7
.LBB3_103:                              ;   in Loop: Header=BB3_81 Depth=2
	s_or_saveexec_b64 s[48:49], s[48:49]
	v_mov_b32_e32 v29, 1
	s_xor_b64 exec, exec, s[48:49]
	s_cbranch_execz .LBB3_80
; %bb.104:                              ;   in Loop: Header=BB3_81 Depth=2
	v_add_u32_e32 v29, 1, v30
	v_mov_b32_e32 v28, v7
	s_branch .LBB3_80
.LBB3_105:                              ;   in Loop: Header=BB3_17 Depth=1
	s_or_b64 exec, exec, s[46:47]
.LBB3_106:                              ;   in Loop: Header=BB3_17 Depth=1
	s_or_b64 exec, exec, s[42:43]
	v_cmp_gt_u32_e32 vcc, s0, v0
	s_and_saveexec_b64 s[42:43], vcc
	s_cbranch_execz .LBB3_114
; %bb.107:                              ;   in Loop: Header=BB3_17 Depth=1
	global_load_dword v5, v23, s[40:41]
	s_waitcnt vmcnt(0)
	v_cmp_gt_f32_e32 vcc, 0, v5
	s_nop 1
	v_cndmask_b32_e64 v2, v21, 0, vcc
	v_xor_b32_e32 v3, v2, v5
	v_lshrrev_b32_e32 v2, s60, v3
	v_and_b32_e32 v2, s68, v2
	v_cmp_ne_u32_e32 vcc, v2, v28
	s_and_saveexec_b64 s[44:45], vcc
	s_xor_b64 s[44:45], exec, s[44:45]
	s_cbranch_execz .LBB3_111
; %bb.108:                              ;   in Loop: Header=BB3_17 Depth=1
	v_cmp_lt_i32_e32 vcc, 0, v29
	s_and_saveexec_b64 s[46:47], vcc
; %bb.109:                              ;   in Loop: Header=BB3_17 Depth=1
	v_lshlrev_b32_e32 v4, 2, v28
	ds_add_u32 v4, v29 offset:640
; %bb.110:                              ;   in Loop: Header=BB3_17 Depth=1
	s_or_b64 exec, exec, s[46:47]
                                        ; implicit-def: $vgpr29
                                        ; implicit-def: $vgpr28
.LBB3_111:                              ;   in Loop: Header=BB3_17 Depth=1
	s_or_saveexec_b64 s[44:45], s[44:45]
	v_mov_b32_e32 v4, 1
	s_xor_b64 exec, exec, s[44:45]
; %bb.112:                              ;   in Loop: Header=BB3_17 Depth=1
	v_add_u32_e32 v4, 1, v29
	v_mov_b32_e32 v2, v28
; %bb.113:                              ;   in Loop: Header=BB3_17 Depth=1
	s_or_b64 exec, exec, s[44:45]
	v_and_b32_e32 v3, 0x7ff, v3
	v_lshlrev_b32_e32 v3, 2, v3
	ds_add_u32 v3, v22 offset:8832
	v_max_f32_e32 v3, v8, v8
	v_max_f32_e32 v6, v5, v5
	;; [unrolled: 1-line block ×3, first 2 shown]
	v_min_f32_e32 v8, v3, v6
	v_max_f32_e32 v1, v1, v6
	v_mov_b32_e32 v28, v2
	v_mov_b32_e32 v29, v4
.LBB3_114:                              ;   in Loop: Header=BB3_17 Depth=1
	s_or_b64 exec, exec, s[42:43]
	s_lshl_b32 s1, s28, 2
	s_add_i32 s1, s1, s0
	v_add_u32_e32 v2, s1, v0
	v_cmp_gt_i32_e32 vcc, s69, v2
	s_and_saveexec_b64 s[0:1], vcc
	s_cbranch_execz .LBB3_122
; %bb.115:                              ;   in Loop: Header=BB3_17 Depth=1
	v_ashrrev_i32_e32 v3, 31, v2
	v_lshl_add_u64 v[2:3], v[2:3], 2, s[40:41]
	global_load_dword v5, v[2:3], off
	s_waitcnt vmcnt(0)
	v_cmp_gt_f32_e32 vcc, 0, v5
	s_nop 1
	v_cndmask_b32_e64 v2, v21, 0, vcc
	v_xor_b32_e32 v3, v2, v5
	v_lshrrev_b32_e32 v2, s60, v3
	v_and_b32_e32 v2, s68, v2
	v_cmp_ne_u32_e32 vcc, v2, v28
	s_and_saveexec_b64 s[40:41], vcc
	s_xor_b64 s[40:41], exec, s[40:41]
	s_cbranch_execz .LBB3_119
; %bb.116:                              ;   in Loop: Header=BB3_17 Depth=1
	v_cmp_lt_i32_e32 vcc, 0, v29
	s_and_saveexec_b64 s[42:43], vcc
; %bb.117:                              ;   in Loop: Header=BB3_17 Depth=1
	v_lshlrev_b32_e32 v4, 2, v28
	ds_add_u32 v4, v29 offset:640
; %bb.118:                              ;   in Loop: Header=BB3_17 Depth=1
	s_or_b64 exec, exec, s[42:43]
                                        ; implicit-def: $vgpr29
                                        ; implicit-def: $vgpr28
.LBB3_119:                              ;   in Loop: Header=BB3_17 Depth=1
	s_or_saveexec_b64 s[40:41], s[40:41]
	v_mov_b32_e32 v4, 1
	s_xor_b64 exec, exec, s[40:41]
; %bb.120:                              ;   in Loop: Header=BB3_17 Depth=1
	v_add_u32_e32 v4, 1, v29
	v_mov_b32_e32 v2, v28
; %bb.121:                              ;   in Loop: Header=BB3_17 Depth=1
	s_or_b64 exec, exec, s[40:41]
	v_and_b32_e32 v3, 0x7ff, v3
	v_lshlrev_b32_e32 v3, 2, v3
	ds_add_u32 v3, v22 offset:8832
	v_max_f32_e32 v3, v8, v8
	v_max_f32_e32 v6, v5, v5
	;; [unrolled: 1-line block ×3, first 2 shown]
	v_min_f32_e32 v8, v3, v6
	v_max_f32_e32 v1, v1, v6
	v_mov_b32_e32 v28, v2
	v_mov_b32_e32 v29, v4
.LBB3_122:                              ;   in Loop: Header=BB3_17 Depth=1
	s_or_b64 exec, exec, s[0:1]
	v_cmp_lt_i32_e32 vcc, 0, v29
	s_and_saveexec_b64 s[0:1], vcc
	s_cbranch_execz .LBB3_125
; %bb.123:                              ;   in Loop: Header=BB3_17 Depth=1
	v_cmp_lt_f32_e32 vcc, 0, v5
	v_xor_b32_e32 v2, 0x80000000, v5
	s_nop 0
	v_cndmask_b32_e64 v3, v21, 0, vcc
	v_xor_b32_e32 v2, v3, v2
	v_lshrrev_b32_e32 v2, s60, v2
	v_and_b32_e32 v2, s68, v2
	v_cmp_ne_u32_e32 vcc, v2, v28
	s_and_b64 exec, exec, vcc
; %bb.124:                              ;   in Loop: Header=BB3_17 Depth=1
	v_lshlrev_b32_e32 v2, 2, v28
	ds_add_u32 v2, v29 offset:640
.LBB3_125:                              ;   in Loop: Header=BB3_17 Depth=1
	s_or_b64 exec, exec, s[0:1]
	v_mov_b32_dpp v2, v8 quad_perm:[1,0,3,2] row_mask:0xf bank_mask:0xf bound_ctrl:1
	v_cmp_lt_f32_e32 vcc, v8, v2
	s_nop 1
	v_cndmask_b32_e32 v2, v2, v8, vcc
	s_nop 1
	v_mov_b32_dpp v3, v2 quad_perm:[2,3,0,1] row_mask:0xf bank_mask:0xf bound_ctrl:1
	v_cmp_lt_f32_e32 vcc, v2, v3
	s_nop 1
	v_cndmask_b32_e32 v2, v3, v2, vcc
	s_nop 1
	v_mov_b32_dpp v3, v2 row_ror:4 row_mask:0xf bank_mask:0xf bound_ctrl:1
	v_cmp_lt_f32_e32 vcc, v2, v3
	s_nop 1
	v_cndmask_b32_e32 v2, v3, v2, vcc
	s_nop 1
	v_mov_b32_dpp v3, v2 row_ror:8 row_mask:0xf bank_mask:0xf bound_ctrl:1
	v_cmp_lt_f32_e32 vcc, v2, v3
	s_nop 1
	v_cndmask_b32_e32 v2, v3, v2, vcc
	s_nop 1
	v_mov_b32_dpp v3, v2 row_bcast:15 row_mask:0xf bank_mask:0xf bound_ctrl:1
	v_cmp_lt_f32_e32 vcc, v2, v3
	s_nop 1
	v_cndmask_b32_e32 v2, v3, v2, vcc
	s_nop 1
	v_mov_b32_dpp v3, v2 row_bcast:31 row_mask:0xf bank_mask:0xf bound_ctrl:1
	v_cmp_lt_f32_e32 vcc, v2, v3
	s_nop 1
	v_cndmask_b32_e32 v2, v3, v2, vcc
	v_lshlrev_b32_e32 v3, 2, v25
	v_or_b32_e32 v6, 0xfc, v3
	ds_bpermute_b32 v2, v6, v2
	v_cmp_eq_u32_e32 vcc, 0, v25
	s_and_saveexec_b64 s[0:1], vcc
	s_cbranch_execz .LBB3_127
; %bb.126:                              ;   in Loop: Header=BB3_17 Depth=1
	s_waitcnt lgkmcnt(0)
	ds_write_b32 v13, v2
.LBB3_127:                              ;   in Loop: Header=BB3_17 Depth=1
	s_or_b64 exec, exec, s[0:1]
	v_and_b32_e32 v4, 15, v25
	v_or_b32_e32 v3, 32, v3
	v_lshlrev_b32_e32 v5, 2, v4
	s_waitcnt lgkmcnt(0)
	s_barrier
	s_and_saveexec_b64 s[40:41], s[4:5]
	s_cbranch_execz .LBB3_129
; %bb.128:                              ;   in Loop: Header=BB3_17 Depth=1
	ds_read_b32 v2, v5 offset:25472
	v_cmp_ne_u32_e64 s[0:1], 15, v4
	s_nop 1
	v_addc_co_u32_e64 v7, s[0:1], 0, v25, s[0:1]
	v_lshlrev_b32_e32 v7, 2, v7
	s_waitcnt lgkmcnt(0)
	ds_bpermute_b32 v7, v7, v2
	v_cmp_gt_u32_e64 s[0:1], 14, v4
	s_nop 1
	v_cndmask_b32_e64 v8, 0, 2, s[0:1]
	s_waitcnt lgkmcnt(0)
	v_cmp_gt_f32_e64 s[0:1], v2, v7
	v_add_lshl_u32 v8, v8, v25, 2
	s_nop 0
	v_cndmask_b32_e64 v2, v2, v7, s[0:1]
	ds_bpermute_b32 v7, v8, v2
	v_cmp_gt_u32_e64 s[0:1], 12, v4
	s_nop 1
	v_cndmask_b32_e64 v8, 0, 4, s[0:1]
	s_waitcnt lgkmcnt(0)
	v_cmp_gt_f32_e64 s[0:1], v2, v7
	v_add_lshl_u32 v8, v8, v25, 2
	s_nop 0
	v_cndmask_b32_e64 v2, v2, v7, s[0:1]
	ds_bpermute_b32 v7, v8, v2
	s_waitcnt lgkmcnt(0)
	v_cmp_gt_f32_e64 s[0:1], v2, v7
	s_nop 1
	v_cndmask_b32_e64 v2, v2, v7, s[0:1]
	ds_bpermute_b32 v7, v3, v2
	s_waitcnt lgkmcnt(0)
	v_cmp_gt_f32_e64 s[0:1], v2, v7
	s_nop 1
	v_cndmask_b32_e64 v2, v2, v7, s[0:1]
.LBB3_129:                              ;   in Loop: Header=BB3_17 Depth=1
	s_or_b64 exec, exec, s[40:41]
	v_mov_b32_dpp v7, v1 quad_perm:[1,0,3,2] row_mask:0xf bank_mask:0xf bound_ctrl:1
	v_cmp_gt_f32_e64 s[0:1], v1, v7
	s_nop 1
	v_cndmask_b32_e64 v1, v7, v1, s[0:1]
	s_nop 1
	v_mov_b32_dpp v7, v1 quad_perm:[2,3,0,1] row_mask:0xf bank_mask:0xf bound_ctrl:1
	v_cmp_gt_f32_e64 s[0:1], v1, v7
	s_nop 1
	v_cndmask_b32_e64 v1, v7, v1, s[0:1]
	s_nop 1
	v_mov_b32_dpp v7, v1 row_ror:4 row_mask:0xf bank_mask:0xf bound_ctrl:1
	v_cmp_gt_f32_e64 s[0:1], v1, v7
	s_nop 1
	v_cndmask_b32_e64 v1, v7, v1, s[0:1]
	s_nop 1
	v_mov_b32_dpp v7, v1 row_ror:8 row_mask:0xf bank_mask:0xf bound_ctrl:1
	v_cmp_gt_f32_e64 s[0:1], v1, v7
	s_nop 1
	v_cndmask_b32_e64 v1, v7, v1, s[0:1]
	s_nop 1
	v_mov_b32_dpp v7, v1 row_bcast:15 row_mask:0xf bank_mask:0xf bound_ctrl:1
	v_cmp_gt_f32_e64 s[0:1], v1, v7
	s_nop 1
	v_cndmask_b32_e64 v1, v7, v1, s[0:1]
	s_nop 1
	v_mov_b32_dpp v7, v1 row_bcast:31 row_mask:0xf bank_mask:0xf bound_ctrl:1
	v_cmp_gt_f32_e64 s[0:1], v1, v7
	s_nop 1
	v_cndmask_b32_e64 v1, v7, v1, s[0:1]
	ds_bpermute_b32 v1, v6, v1
	s_and_saveexec_b64 s[0:1], vcc
	s_cbranch_execz .LBB3_131
; %bb.130:                              ;   in Loop: Header=BB3_17 Depth=1
	s_waitcnt lgkmcnt(0)
	ds_write_b32 v13, v1
.LBB3_131:                              ;   in Loop: Header=BB3_17 Depth=1
	s_or_b64 exec, exec, s[0:1]
	s_waitcnt lgkmcnt(0)
	s_barrier
	s_and_saveexec_b64 s[0:1], s[4:5]
	s_cbranch_execz .LBB3_133
; %bb.132:                              ;   in Loop: Header=BB3_17 Depth=1
	ds_read_b32 v1, v5 offset:25472
	v_cmp_ne_u32_e32 vcc, 15, v4
	s_nop 1
	v_addc_co_u32_e32 v5, vcc, 0, v25, vcc
	v_lshlrev_b32_e32 v5, 2, v5
	s_waitcnt lgkmcnt(0)
	ds_bpermute_b32 v5, v5, v1
	v_cmp_gt_u32_e32 vcc, 14, v4
	s_nop 1
	v_cndmask_b32_e64 v6, 0, 2, vcc
	s_waitcnt lgkmcnt(0)
	v_cmp_lt_f32_e32 vcc, v1, v5
	v_add_lshl_u32 v6, v6, v25, 2
	s_nop 0
	v_cndmask_b32_e32 v1, v1, v5, vcc
	ds_bpermute_b32 v5, v6, v1
	v_cmp_gt_u32_e32 vcc, 12, v4
	s_nop 1
	v_cndmask_b32_e64 v4, 0, 4, vcc
	s_waitcnt lgkmcnt(0)
	v_cmp_lt_f32_e32 vcc, v1, v5
	v_add_lshl_u32 v4, v4, v25, 2
	s_nop 0
	v_cndmask_b32_e32 v1, v1, v5, vcc
	ds_bpermute_b32 v4, v4, v1
	s_waitcnt lgkmcnt(0)
	v_cmp_lt_f32_e32 vcc, v1, v4
	s_nop 1
	v_cndmask_b32_e32 v1, v1, v4, vcc
	ds_bpermute_b32 v3, v3, v1
	s_waitcnt lgkmcnt(0)
	v_cmp_lt_f32_e32 vcc, v1, v3
	s_nop 1
	v_cndmask_b32_e32 v1, v1, v3, vcc
.LBB3_133:                              ;   in Loop: Header=BB3_17 Depth=1
	s_or_b64 exec, exec, s[0:1]
	s_and_saveexec_b64 s[0:1], s[12:13]
	s_cbranch_execz .LBB3_135
; %bb.134:                              ;   in Loop: Header=BB3_17 Depth=1
	v_cmp_gt_f32_e32 vcc, 0, v2
	s_nop 1
	v_cndmask_b32_e64 v3, v26, 0, vcc
	v_cmp_gt_f32_e32 vcc, 0, v1
	v_xor_b32_e32 v2, v3, v2
	v_xor_b32_e32 v1, v2, v1
	v_cndmask_b32_e64 v4, v26, 0, vcc
	v_xor_b32_e32 v1, v1, v4
	v_cmp_gt_u32_e32 vcc, s65, v1
	s_nop 1
	v_cndmask_b32_e64 v1, 0, 1, vcc
	ds_write_b8 v12, v1 offset:25536
.LBB3_135:                              ;   in Loop: Header=BB3_17 Depth=1
	s_or_b64 exec, exec, s[0:1]
	s_waitcnt lgkmcnt(0)
	s_barrier
	ds_read_u8 v1, v12 offset:25536
	s_waitcnt lgkmcnt(0)
	v_readfirstlane_b32 s0, v1
	s_bitcmp1_b32 s0, 0
	s_cselect_b64 s[42:43], -1, 0
.LBB3_136:                              ;   in Loop: Header=BB3_17 Depth=1
	s_and_b64 s[0:1], s[42:43], exec
	s_cselect_b32 s28, 0x800, 0
	s_waitcnt lgkmcnt(0)
	v_or_b32_e32 v1, s28, v0
	v_lshlrev_b32_e32 v1, 2, v1
	v_add_u32_e32 v2, 0x280, v1
	v_mov_b32_e32 v3, s27
	s_barrier
	flat_load_dword v6, v[2:3] sc0 sc1
	s_waitcnt vmcnt(0)
	v_add_u32_e32 v4, 0x1280, v1
	v_mov_b32_e32 v5, s27
	flat_load_dword v1, v[4:5] sc0 sc1
	s_waitcnt vmcnt(0) lgkmcnt(0)
	ds_write_b32 v10, v6
	ds_write_b32 v11, v1 offset:4096
	s_waitcnt lgkmcnt(0)
	s_barrier
	ds_read2_b32 v[6:7], v27 offset1:1
	s_waitcnt lgkmcnt(0)
	s_barrier
	v_add_u32_e32 v1, v7, v6
	ds_write_b32 v10, v1
	s_waitcnt lgkmcnt(0)
	s_barrier
	s_and_saveexec_b64 s[0:1], s[4:5]
	s_cbranch_execz .LBB3_138
; %bb.137:                              ;   in Loop: Header=BB3_17 Depth=1
	ds_read2_b32 v[28:29], v24 offset1:1
	ds_read2_b32 v[30:31], v24 offset0:2 offset1:3
	ds_read2_b32 v[32:33], v24 offset0:4 offset1:5
	;; [unrolled: 1-line block ×3, first 2 shown]
	s_waitcnt lgkmcnt(3)
	v_add_u32_e32 v8, v29, v28
	s_waitcnt lgkmcnt(2)
	v_add3_u32 v8, v8, v30, v31
	s_waitcnt lgkmcnt(1)
	v_add3_u32 v8, v8, v32, v33
	ds_read2_b32 v[30:31], v24 offset0:8 offset1:9
	ds_read2_b32 v[32:33], v24 offset0:10 offset1:11
	;; [unrolled: 1-line block ×4, first 2 shown]
	s_waitcnt lgkmcnt(4)
	v_add3_u32 v8, v8, v34, v35
	s_waitcnt lgkmcnt(3)
	v_add3_u32 v8, v8, v30, v31
	;; [unrolled: 2-line block ×5, first 2 shown]
	v_and_b32_e32 v29, 15, v25
	v_cmp_ne_u32_e32 vcc, 0, v29
	v_mov_b32_dpp v30, v8 row_shr:1 row_mask:0xf bank_mask:0xf
	s_nop 0
	v_cndmask_b32_e32 v30, 0, v30, vcc
	v_add_u32_e32 v8, v30, v8
	v_cmp_lt_u32_e32 vcc, 1, v29
	; wave barrier
	s_nop 0
	v_mov_b32_dpp v30, v8 row_shr:2 row_mask:0xf bank_mask:0xf
	v_cndmask_b32_e32 v30, 0, v30, vcc
	v_add_u32_e32 v8, v8, v30
	v_cmp_lt_u32_e32 vcc, 3, v29
	s_nop 0
	v_mov_b32_dpp v30, v8 row_shr:4 row_mask:0xf bank_mask:0xf
	v_cndmask_b32_e32 v30, 0, v30, vcc
	v_add_u32_e32 v8, v8, v30
	v_cmp_lt_u32_e32 vcc, 7, v29
	s_nop 0
	v_mov_b32_dpp v30, v8 row_shr:8 row_mask:0xf bank_mask:0xf
	v_cndmask_b32_e32 v29, 0, v30, vcc
	v_add_u32_e32 v8, v8, v29
	v_bfe_i32 v30, v25, 4, 1
	v_cmp_lt_u32_e32 vcc, 31, v25
	v_mov_b32_dpp v29, v8 row_bcast:15 row_mask:0xf bank_mask:0xf
	v_and_b32_e32 v29, v30, v29
	v_add_u32_e32 v8, v8, v29
	v_and_b32_e32 v30, 64, v25
	s_nop 0
	v_mov_b32_dpp v29, v8 row_bcast:31 row_mask:0xf bank_mask:0xf
	v_cndmask_b32_e32 v29, 0, v29, vcc
	v_add_u32_e32 v8, v8, v29
	v_add_u32_e32 v29, -1, v25
	v_cmp_lt_i32_e32 vcc, v29, v30
	s_nop 1
	v_cndmask_b32_e32 v29, v29, v25, vcc
	v_lshlrev_b32_e32 v29, 2, v29
	ds_bpermute_b32 v8, v29, v8
	s_waitcnt lgkmcnt(0)
	v_add_u32_e32 v8, v8, v28
	v_cndmask_b32_e64 v8, v8, v1, s[12:13]
	ds_write_b32 v24, v8
	; wave barrier
	ds_read2_b32 v[28:29], v24 offset0:1 offset1:2
	ds_read2_b32 v[30:31], v24 offset0:3 offset1:4
	ds_read2_b32 v[32:33], v24 offset0:5 offset1:6
	ds_read2_b32 v[34:35], v24 offset0:7 offset1:8
	s_waitcnt lgkmcnt(3)
	v_add_u32_e32 v8, v28, v8
	v_add_u32_e32 v28, v29, v8
	ds_write2_b32 v24, v8, v28 offset0:1 offset1:2
	s_waitcnt lgkmcnt(3)
	v_add_u32_e32 v8, v30, v28
	v_add_u32_e32 v28, v31, v8
	ds_write2_b32 v24, v8, v28 offset0:3 offset1:4
	;; [unrolled: 4-line block ×3, first 2 shown]
	s_waitcnt lgkmcnt(3)
	v_add_u32_e32 v8, v34, v28
	ds_read2_b32 v[28:29], v24 offset0:9 offset1:10
	v_add_u32_e32 v34, v35, v8
	ds_write2_b32 v24, v8, v34 offset0:7 offset1:8
	ds_read2_b32 v[30:31], v24 offset0:11 offset1:12
	ds_read2_b32 v[32:33], v24 offset0:13 offset1:14
	ds_read_b32 v8, v24 offset:60
	s_waitcnt lgkmcnt(4)
	v_add_u32_e32 v28, v28, v34
	v_add_u32_e32 v29, v29, v28
	ds_write2_b32 v24, v28, v29 offset0:9 offset1:10
	s_waitcnt lgkmcnt(3)
	v_add_u32_e32 v28, v30, v29
	v_add_u32_e32 v29, v31, v28
	ds_write2_b32 v24, v28, v29 offset0:11 offset1:12
	s_waitcnt lgkmcnt(3)
	v_add_u32_e32 v28, v32, v29
	v_add_u32_e32 v29, v33, v28
	s_waitcnt lgkmcnt(2)
	v_add_u32_e32 v8, v8, v29
	ds_write2_b32 v24, v28, v29 offset0:13 offset1:14
	ds_write_b32 v24, v8 offset:60
.LBB3_138:                              ;   in Loop: Header=BB3_17 Depth=1
	s_or_b64 exec, exec, s[0:1]
	v_mov_b32_e32 v8, v6
	s_waitcnt lgkmcnt(0)
	s_barrier
	s_and_saveexec_b64 s[0:1], s[14:15]
	s_cbranch_execz .LBB3_140
; %bb.139:                              ;   in Loop: Header=BB3_17 Depth=1
	ds_read_b32 v1, v14
	;;#ASMSTART
	;;#ASMEND
	s_waitcnt lgkmcnt(0)
	v_add_u32_e32 v8, v1, v6
	v_add_u32_e32 v1, v8, v7
.LBB3_140:                              ;   in Loop: Header=BB3_17 Depth=1
	s_or_b64 exec, exec, s[0:1]
	s_barrier
	ds_write2_b32 v27, v8, v1 offset1:1
	s_waitcnt lgkmcnt(0)
	s_barrier
	ds_read_b32 v1, v10
	ds_read_b32 v6, v11 offset:4096
	s_and_b64 s[0:1], s[42:43], exec
	s_waitcnt lgkmcnt(1)
	flat_store_dword v[2:3], v1 sc0 sc1
	s_waitcnt vmcnt(0) lgkmcnt(0)
	flat_store_dword v[4:5], v6 sc0 sc1
	s_waitcnt vmcnt(0) lgkmcnt(0)
	s_barrier
	s_cselect_b32 s0, 3, 0
	ds_read_b32 v1, v12 offset:12
	s_add_i32 s0, s0, s66
	s_mul_i32 s0, s0, -11
	s_max_i32 s44, s0, 0xffffffeb
	s_add_i32 s44, s44, 21
	v_lshl_add_u32 v2, s28, 2, v19
	s_mov_b64 s[40:41], 0
	v_mov_b32_e32 v3, v0
	s_branch .LBB3_142
.LBB3_141:                              ;   in Loop: Header=BB3_142 Depth=2
	s_or_b64 exec, exec, s[0:1]
	v_add_u32_e32 v3, s58, v3
	v_cmp_lt_u32_e32 vcc, s64, v3
	s_or_b64 s[40:41], vcc, s[40:41]
	v_add_u32_e32 v2, s62, v2
	s_andn2_b64 exec, exec, s[40:41]
	s_cbranch_execz .LBB3_146
.LBB3_142:                              ;   Parent Loop BB3_17 Depth=1
                                        ; =>  This Inner Loop Header: Depth=2
	v_mov_b32_e32 v4, 0
	v_cmp_ne_u32_e32 vcc, 0, v3
	s_and_saveexec_b64 s[0:1], vcc
; %bb.143:                              ;   in Loop: Header=BB3_142 Depth=2
	ds_read_b32 v4, v2
; %bb.144:                              ;   in Loop: Header=BB3_142 Depth=2
	s_or_b64 exec, exec, s[0:1]
	ds_read_b32 v5, v2 offset:4
	s_waitcnt lgkmcnt(1)
	v_cmp_gt_i32_e32 vcc, s67, v4
	s_waitcnt lgkmcnt(0)
	v_cmp_le_i32_e64 s[0:1], s67, v5
	s_and_b64 s[46:47], vcc, s[0:1]
	s_and_saveexec_b64 s[0:1], s[46:47]
	s_cbranch_execz .LBB3_141
; %bb.145:                              ;   in Loop: Header=BB3_142 Depth=2
	v_sub_u32_e32 v5, v5, v4
	v_sub_u32_e32 v4, s67, v4
	v_lshl_or_b32 v1, v3, s44, v1
	ds_write_b64 v12, v[4:5]
	ds_write_b32 v12, v1 offset:12
	s_branch .LBB3_141
.LBB3_146:                              ;   in Loop: Header=BB3_17 Depth=1
	s_or_b64 exec, exec, s[40:41]
	s_and_saveexec_b64 s[0:1], s[12:13]
; %bb.147:                              ;   in Loop: Header=BB3_17 Depth=1
	v_mov_b32_e32 v1, s61
	ds_write_b32 v12, v1 offset:8
; %bb.148:                              ;   in Loop: Header=BB3_17 Depth=1
	s_or_b64 exec, exec, s[0:1]
	s_cmp_lg_u32 s66, 2
	s_cselect_b64 s[40:41], -1, 0
	s_xor_b64 s[44:45], s[42:43], -1
	s_and_b64 s[40:41], s[40:41], s[44:45]
	s_mov_b64 s[0:1], -1
	s_and_b64 vcc, exec, s[40:41]
	s_mov_b64 s[40:41], -1
	s_waitcnt lgkmcnt(0)
	s_barrier
                                        ; implicit-def: $vgpr3
	s_cbranch_vccz .LBB3_16
; %bb.149:                              ;   in Loop: Header=BB3_17 Depth=1
	ds_read_b64 v[2:3], v12
	s_add_i32 s66, s66, 1
	s_mov_b64 s[0:1], 0
	s_waitcnt lgkmcnt(0)
	v_cmp_eq_u32_e64 s[40:41], v3, v2
	s_branch .LBB3_16
.LBB3_150:
	s_andn2_b64 vcc, exec, s[0:1]
	s_mov_b64 s[0:1], -1
	s_cbranch_vccz .LBB3_190
; %bb.151:
	v_mov_b32_e32 v1, 0
	ds_read_b32 v1, v1 offset:12
	s_and_b64 s[0:1], s[18:19], exec
	s_cselect_b32 s0, 0, s2
	s_cselect_b32 s1, 0, s3
	s_cmp_eq_u64 s[20:21], 0
	s_cselect_b32 s7, s17, s1
	s_cselect_b32 s6, s16, s0
	;; [unrolled: 1-line block ×5, first 2 shown]
	s_cmp_eq_u64 s[6:7], 0
	v_cmp_gt_i32_e64 s[0:1], s30, v0
	s_cbranch_scc1 .LBB3_170
; %bb.152:
	s_and_saveexec_b64 s[8:9], s[0:1]
	s_cbranch_execz .LBB3_169
; %bb.153:
	s_lshl_b32 s31, -1, s60
	s_mov_b64 s[10:11], 0
	v_bfrev_b32_e32 v2, -2
	v_mov_b32_e32 v8, 0
	v_mov_b32_e32 v4, v0
	s_branch .LBB3_155
.LBB3_154:                              ;   in Loop: Header=BB3_155 Depth=1
	s_or_b64 exec, exec, s[12:13]
	v_add_u32_e32 v4, s58, v4
	v_cmp_le_i32_e32 vcc, s30, v4
	s_or_b64 s[10:11], vcc, s[10:11]
	s_andn2_b64 exec, exec, s[10:11]
	s_cbranch_execz .LBB3_169
.LBB3_155:                              ; =>This Inner Loop Header: Depth=1
	v_ashrrev_i32_e32 v5, 31, v4
	v_lshl_add_u64 v[6:7], v[4:5], 2, s[4:5]
	global_load_dword v6, v[6:7], off
	s_mov_b64 s[14:15], 0
                                        ; implicit-def: $vgpr9
	s_waitcnt vmcnt(0)
	v_cmp_gt_f32_e32 vcc, 0, v6
	s_nop 1
	v_cndmask_b32_e64 v7, v2, 0, vcc
	v_bitop3_b32 v7, v7, s31, v6 bitop3:0x48
	s_waitcnt lgkmcnt(0)
	v_cmp_ge_u32_e32 vcc, v7, v1
                                        ; implicit-def: $vgpr6
	s_and_saveexec_b64 s[12:13], vcc
	s_xor_b64 s[12:13], exec, s[12:13]
	s_cbranch_execnz .LBB3_158
; %bb.156:                              ;   in Loop: Header=BB3_155 Depth=1
	s_andn2_saveexec_b64 s[12:13], s[12:13]
	s_cbranch_execnz .LBB3_165
.LBB3_157:                              ;   in Loop: Header=BB3_155 Depth=1
	s_or_b64 exec, exec, s[12:13]
	s_and_saveexec_b64 s[12:13], s[14:15]
	s_cbranch_execz .LBB3_154
	s_branch .LBB3_168
.LBB3_158:                              ;   in Loop: Header=BB3_155 Depth=1
	v_cmp_eq_u32_e32 vcc, v7, v1
	s_mov_b64 s[26:27], 0
                                        ; implicit-def: $vgpr9
                                        ; implicit-def: $vgpr6
	s_and_saveexec_b64 s[14:15], vcc
	s_cbranch_execz .LBB3_164
; %bb.159:                              ;   in Loop: Header=BB3_155 Depth=1
	v_lshl_add_u64 v[6:7], v[4:5], 2, s[6:7]
	global_load_dword v9, v[6:7], off
	s_mov_b64 s[26:27], exec
	v_mbcnt_lo_u32_b32 v6, s26, 0
	v_mbcnt_hi_u32_b32 v6, s27, v6
	v_cmp_eq_u32_e32 vcc, 0, v6
                                        ; implicit-def: $vgpr7
	s_and_saveexec_b64 s[28:29], vcc
; %bb.160:                              ;   in Loop: Header=BB3_155 Depth=1
	s_bcnt1_i32_b64 s26, s[26:27]
	v_mov_b32_e32 v7, s26
	ds_add_rtn_u32 v7, v8, v7 offset:512
; %bb.161:                              ;   in Loop: Header=BB3_155 Depth=1
	s_or_b64 exec, exec, s[28:29]
	s_waitcnt lgkmcnt(0)
	v_readfirstlane_b32 s26, v7
	s_nop 1
	v_add_u32_e32 v7, s26, v6
	v_cmp_lt_i32_e32 vcc, v7, v3
	s_mov_b64 s[26:27], 0
                                        ; implicit-def: $vgpr6
	s_and_saveexec_b64 s[28:29], vcc
	s_xor_b64 s[28:29], exec, s[28:29]
; %bb.162:                              ;   in Loop: Header=BB3_155 Depth=1
	s_mov_b64 s[26:27], exec
	v_xad_u32 v6, v7, -1, s33
; %bb.163:                              ;   in Loop: Header=BB3_155 Depth=1
	s_or_b64 exec, exec, s[28:29]
	s_and_b64 s[26:27], s[26:27], exec
.LBB3_164:                              ;   in Loop: Header=BB3_155 Depth=1
	s_or_b64 exec, exec, s[14:15]
	s_and_b64 s[14:15], s[26:27], exec
	s_andn2_saveexec_b64 s[12:13], s[12:13]
	s_cbranch_execz .LBB3_157
.LBB3_165:                              ;   in Loop: Header=BB3_155 Depth=1
	s_mov_b64 s[28:29], exec
	v_mbcnt_lo_u32_b32 v6, s28, 0
	v_mbcnt_hi_u32_b32 v6, s29, v6
	v_cmp_eq_u32_e32 vcc, 0, v6
                                        ; implicit-def: $vgpr7
	s_and_saveexec_b64 s[26:27], vcc
; %bb.166:                              ;   in Loop: Header=BB3_155 Depth=1
	s_bcnt1_i32_b64 s28, s[28:29]
	v_mov_b32_e32 v7, s28
	ds_add_rtn_u32 v7, v8, v7 offset:384
; %bb.167:                              ;   in Loop: Header=BB3_155 Depth=1
	s_or_b64 exec, exec, s[26:27]
	v_lshl_add_u64 v[10:11], v[4:5], 2, s[6:7]
	global_load_dword v9, v[10:11], off
	s_waitcnt lgkmcnt(0)
	v_readfirstlane_b32 s26, v7
	s_or_b64 s[14:15], s[14:15], exec
	s_nop 0
	v_add_u32_e32 v6, s26, v6
	s_or_b64 exec, exec, s[12:13]
	s_and_saveexec_b64 s[12:13], s[14:15]
	s_cbranch_execz .LBB3_154
.LBB3_168:                              ;   in Loop: Header=BB3_155 Depth=1
	v_ashrrev_i32_e32 v7, 31, v6
	v_lshl_add_u64 v[6:7], v[6:7], 2, s[22:23]
	s_waitcnt vmcnt(0)
	global_store_dword v[6:7], v9, off
	s_branch .LBB3_154
.LBB3_169:
	s_or_b64 exec, exec, s[8:9]
	s_cbranch_execz .LBB3_171
	s_branch .LBB3_189
.LBB3_170:
.LBB3_171:
	s_and_saveexec_b64 s[6:7], s[0:1]
	s_cbranch_execz .LBB3_188
; %bb.172:
	s_lshl_b32 s26, -1, s60
	s_mov_b64 s[0:1], 0
	v_bfrev_b32_e32 v2, -2
	v_mov_b32_e32 v8, 0
	v_mov_b32_e32 v4, v0
	s_branch .LBB3_174
.LBB3_173:                              ;   in Loop: Header=BB3_174 Depth=1
	s_or_b64 exec, exec, s[8:9]
	v_add_u32_e32 v4, s58, v4
	v_cmp_le_i32_e32 vcc, s30, v4
	s_or_b64 s[0:1], vcc, s[0:1]
	s_andn2_b64 exec, exec, s[0:1]
	s_cbranch_execz .LBB3_188
.LBB3_174:                              ; =>This Inner Loop Header: Depth=1
	v_ashrrev_i32_e32 v5, 31, v4
	v_lshl_add_u64 v[6:7], v[4:5], 2, s[4:5]
	global_load_dword v5, v[6:7], off
	s_mov_b64 s[10:11], 0
	s_waitcnt vmcnt(0)
	v_cmp_gt_f32_e32 vcc, 0, v5
	s_nop 1
	v_cndmask_b32_e64 v6, v2, 0, vcc
	v_bitop3_b32 v5, v6, s26, v5 bitop3:0x48
	s_waitcnt lgkmcnt(0)
	v_cmp_ge_u32_e32 vcc, v5, v1
                                        ; implicit-def: $vgpr6
	s_and_saveexec_b64 s[8:9], vcc
	s_xor_b64 s[8:9], exec, s[8:9]
	s_cbranch_execnz .LBB3_177
; %bb.175:                              ;   in Loop: Header=BB3_174 Depth=1
	s_andn2_saveexec_b64 s[8:9], s[8:9]
	s_cbranch_execnz .LBB3_184
.LBB3_176:                              ;   in Loop: Header=BB3_174 Depth=1
	s_or_b64 exec, exec, s[8:9]
	s_and_saveexec_b64 s[8:9], s[10:11]
	s_cbranch_execz .LBB3_173
	s_branch .LBB3_187
.LBB3_177:                              ;   in Loop: Header=BB3_174 Depth=1
	v_cmp_eq_u32_e32 vcc, v5, v1
	s_mov_b64 s[12:13], 0
                                        ; implicit-def: $vgpr6
	s_and_saveexec_b64 s[10:11], vcc
	s_cbranch_execz .LBB3_183
; %bb.178:                              ;   in Loop: Header=BB3_174 Depth=1
	s_mov_b64 s[14:15], exec
	v_mbcnt_lo_u32_b32 v5, s14, 0
	v_mbcnt_hi_u32_b32 v5, s15, v5
	v_cmp_eq_u32_e32 vcc, 0, v5
                                        ; implicit-def: $vgpr6
	s_and_saveexec_b64 s[12:13], vcc
; %bb.179:                              ;   in Loop: Header=BB3_174 Depth=1
	s_bcnt1_i32_b64 s14, s[14:15]
	v_mov_b32_e32 v6, s14
	ds_add_rtn_u32 v6, v8, v6 offset:512
; %bb.180:                              ;   in Loop: Header=BB3_174 Depth=1
	s_or_b64 exec, exec, s[12:13]
	s_waitcnt lgkmcnt(0)
	v_readfirstlane_b32 s12, v6
                                        ; implicit-def: $vgpr6
	s_nop 1
	v_add_u32_e32 v5, s12, v5
	v_cmp_lt_i32_e32 vcc, v5, v3
	s_mov_b64 s[12:13], 0
	s_and_saveexec_b64 s[14:15], vcc
	s_xor_b64 s[14:15], exec, s[14:15]
; %bb.181:                              ;   in Loop: Header=BB3_174 Depth=1
	s_mov_b64 s[12:13], exec
	v_xad_u32 v6, v5, -1, s33
; %bb.182:                              ;   in Loop: Header=BB3_174 Depth=1
	s_or_b64 exec, exec, s[14:15]
	s_and_b64 s[12:13], s[12:13], exec
.LBB3_183:                              ;   in Loop: Header=BB3_174 Depth=1
	s_or_b64 exec, exec, s[10:11]
	s_and_b64 s[10:11], s[12:13], exec
	s_andn2_saveexec_b64 s[8:9], s[8:9]
	s_cbranch_execz .LBB3_176
.LBB3_184:                              ;   in Loop: Header=BB3_174 Depth=1
	s_mov_b64 s[14:15], exec
	v_mbcnt_lo_u32_b32 v5, s14, 0
	v_mbcnt_hi_u32_b32 v5, s15, v5
	v_cmp_eq_u32_e32 vcc, 0, v5
                                        ; implicit-def: $vgpr6
	s_and_saveexec_b64 s[12:13], vcc
; %bb.185:                              ;   in Loop: Header=BB3_174 Depth=1
	s_bcnt1_i32_b64 s14, s[14:15]
	v_mov_b32_e32 v6, s14
	ds_add_rtn_u32 v6, v8, v6 offset:384
; %bb.186:                              ;   in Loop: Header=BB3_174 Depth=1
	s_or_b64 exec, exec, s[12:13]
	s_waitcnt lgkmcnt(0)
	v_readfirstlane_b32 s12, v6
	s_or_b64 s[10:11], s[10:11], exec
	s_nop 0
	v_add_u32_e32 v6, s12, v5
	s_or_b64 exec, exec, s[8:9]
	s_and_saveexec_b64 s[8:9], s[10:11]
	s_cbranch_execz .LBB3_173
.LBB3_187:                              ;   in Loop: Header=BB3_174 Depth=1
	v_ashrrev_i32_e32 v7, 31, v6
	v_lshl_add_u64 v[6:7], v[6:7], 2, s[22:23]
	global_store_dword v[6:7], v4, off
	s_branch .LBB3_173
.LBB3_188:
	s_or_b64 exec, exec, s[6:7]
.LBB3_189:
	s_mov_b64 s[0:1], 0
.LBB3_190:
	s_andn2_b64 vcc, exec, s[0:1]
	s_cbranch_vccnz .LBB3_236
; %bb.191:
	s_waitcnt lgkmcnt(0)
	v_mov_b32_e32 v1, 0
	s_xor_b64 s[4:5], s[42:43], -1
	ds_read2_b32 v[2:3], v1 offset1:3
	s_and_b64 s[0:1], s[18:19], exec
	s_cselect_b32 s0, 0, s2
	s_cselect_b32 s1, 0, s3
	s_cmp_eq_u64 s[20:21], 0
	s_cselect_b32 s6, s24, s20
	s_cselect_b32 s9, s17, s1
	;; [unrolled: 1-line block ×5, first 2 shown]
	s_cmp_eq_u64 s[8:9], 0
	v_cmp_gt_i32_e64 s[0:1], s20, v0
	s_cbranch_scc1 .LBB3_214
; %bb.192:
	s_and_saveexec_b64 s[10:11], s[0:1]
	s_cbranch_execz .LBB3_213
; %bb.193:
	s_lshl_b32 s21, -1, s60
	s_mov_b64 s[12:13], 0
	s_movk_i32 s24, 0x7ff
	v_mov_b32_e32 v1, 0
	v_bfrev_b32_e32 v8, -2
	s_waitcnt vmcnt(0)
	v_mov_b32_e32 v9, 0x7ff
	v_mov_b32_e32 v4, v0
	s_branch .LBB3_195
.LBB3_194:                              ;   in Loop: Header=BB3_195 Depth=1
	s_or_b64 exec, exec, s[2:3]
	v_add_u32_e32 v4, s58, v4
	v_cmp_le_i32_e32 vcc, s20, v4
	s_or_b64 s[12:13], vcc, s[12:13]
	s_andn2_b64 exec, exec, s[12:13]
	s_cbranch_execz .LBB3_213
.LBB3_195:                              ; =>This Inner Loop Header: Depth=1
	v_ashrrev_i32_e32 v5, 31, v4
	v_lshl_add_u64 v[6:7], v[4:5], 2, s[6:7]
	global_load_dword v6, v[6:7], off
	s_mov_b64 s[14:15], -1
	s_and_b64 vcc, exec, s[4:5]
                                        ; implicit-def: $vgpr7
	s_waitcnt vmcnt(0)
	v_cmp_gt_f32_e64 s[2:3], 0, v6
	s_cbranch_vccz .LBB3_197
; %bb.196:                              ;   in Loop: Header=BB3_195 Depth=1
	s_nop 0
	v_cndmask_b32_e64 v7, v8, 0, s[2:3]
	v_bitop3_b32 v7, v7, s21, v6 bitop3:0x48
	s_mov_b64 s[14:15], 0
.LBB3_197:                              ;   in Loop: Header=BB3_195 Depth=1
	s_andn2_b64 vcc, exec, s[14:15]
	s_cbranch_vccnz .LBB3_199
; %bb.198:                              ;   in Loop: Header=BB3_195 Depth=1
	v_cndmask_b32_e64 v7, v9, 0, s[2:3]
	v_bitop3_b32 v7, v7, v6, s24 bitop3:0x78
.LBB3_199:                              ;   in Loop: Header=BB3_195 Depth=1
	s_waitcnt lgkmcnt(0)
	v_cmp_ge_u32_e32 vcc, v7, v3
	s_mov_b64 s[14:15], 0
                                        ; implicit-def: $vgpr10
                                        ; implicit-def: $vgpr6
	s_and_saveexec_b64 s[2:3], vcc
	s_xor_b64 s[2:3], exec, s[2:3]
	s_cbranch_execnz .LBB3_202
; %bb.200:                              ;   in Loop: Header=BB3_195 Depth=1
	s_andn2_saveexec_b64 s[2:3], s[2:3]
	s_cbranch_execnz .LBB3_209
.LBB3_201:                              ;   in Loop: Header=BB3_195 Depth=1
	s_or_b64 exec, exec, s[2:3]
	s_and_saveexec_b64 s[2:3], s[14:15]
	s_cbranch_execz .LBB3_194
	s_branch .LBB3_212
.LBB3_202:                              ;   in Loop: Header=BB3_195 Depth=1
	v_cmp_eq_u32_e32 vcc, v7, v3
	s_mov_b64 s[16:17], 0
                                        ; implicit-def: $vgpr10
                                        ; implicit-def: $vgpr6
	s_and_saveexec_b64 s[14:15], vcc
	s_cbranch_execz .LBB3_208
; %bb.203:                              ;   in Loop: Header=BB3_195 Depth=1
	v_lshl_add_u64 v[6:7], v[4:5], 2, s[8:9]
	global_load_dword v10, v[6:7], off
	s_mov_b64 s[16:17], exec
	v_mbcnt_lo_u32_b32 v6, s16, 0
	v_mbcnt_hi_u32_b32 v6, s17, v6
	v_cmp_eq_u32_e32 vcc, 0, v6
                                        ; implicit-def: $vgpr7
	s_and_saveexec_b64 s[18:19], vcc
; %bb.204:                              ;   in Loop: Header=BB3_195 Depth=1
	s_bcnt1_i32_b64 s16, s[16:17]
	v_mov_b32_e32 v7, s16
	ds_add_rtn_u32 v7, v1, v7 offset:512
; %bb.205:                              ;   in Loop: Header=BB3_195 Depth=1
	s_or_b64 exec, exec, s[18:19]
	s_waitcnt lgkmcnt(0)
	v_readfirstlane_b32 s16, v7
	s_nop 1
	v_add_u32_e32 v7, s16, v6
	v_cmp_lt_i32_e32 vcc, v7, v2
	s_mov_b64 s[16:17], 0
                                        ; implicit-def: $vgpr6
	s_and_saveexec_b64 s[18:19], vcc
	s_xor_b64 s[18:19], exec, s[18:19]
; %bb.206:                              ;   in Loop: Header=BB3_195 Depth=1
	s_mov_b64 s[16:17], exec
	v_xad_u32 v6, v7, -1, s33
; %bb.207:                              ;   in Loop: Header=BB3_195 Depth=1
	s_or_b64 exec, exec, s[18:19]
	s_and_b64 s[16:17], s[16:17], exec
.LBB3_208:                              ;   in Loop: Header=BB3_195 Depth=1
	s_or_b64 exec, exec, s[14:15]
	s_and_b64 s[14:15], s[16:17], exec
	s_andn2_saveexec_b64 s[2:3], s[2:3]
	s_cbranch_execz .LBB3_201
.LBB3_209:                              ;   in Loop: Header=BB3_195 Depth=1
	s_mov_b64 s[18:19], exec
	v_mbcnt_lo_u32_b32 v6, s18, 0
	v_mbcnt_hi_u32_b32 v6, s19, v6
	v_cmp_eq_u32_e32 vcc, 0, v6
                                        ; implicit-def: $vgpr7
	s_and_saveexec_b64 s[16:17], vcc
; %bb.210:                              ;   in Loop: Header=BB3_195 Depth=1
	s_bcnt1_i32_b64 s18, s[18:19]
	v_mov_b32_e32 v7, s18
	ds_add_rtn_u32 v7, v1, v7 offset:384
; %bb.211:                              ;   in Loop: Header=BB3_195 Depth=1
	s_or_b64 exec, exec, s[16:17]
	s_waitcnt vmcnt(0)
	v_lshl_add_u64 v[10:11], v[4:5], 2, s[8:9]
	global_load_dword v10, v[10:11], off
	s_waitcnt lgkmcnt(0)
	v_readfirstlane_b32 s16, v7
	s_or_b64 s[14:15], s[14:15], exec
	s_nop 0
	v_add_u32_e32 v6, s16, v6
	s_or_b64 exec, exec, s[2:3]
	s_and_saveexec_b64 s[2:3], s[14:15]
	s_cbranch_execz .LBB3_194
.LBB3_212:                              ;   in Loop: Header=BB3_195 Depth=1
	v_ashrrev_i32_e32 v7, 31, v6
	v_lshl_add_u64 v[6:7], v[6:7], 2, s[22:23]
	s_waitcnt vmcnt(0)
	global_store_dword v[6:7], v10, off
	s_branch .LBB3_194
.LBB3_213:
	s_or_b64 exec, exec, s[10:11]
	s_cbranch_execz .LBB3_215
	s_branch .LBB3_236
.LBB3_214:
.LBB3_215:
	s_and_saveexec_b64 s[2:3], s[0:1]
	s_cbranch_execz .LBB3_236
; %bb.216:
	s_lshl_b32 s14, -1, s60
	s_mov_b64 s[2:3], 0
	s_movk_i32 s15, 0x7ff
	v_mov_b32_e32 v6, 0
	v_bfrev_b32_e32 v7, -2
	v_mov_b32_e32 v8, 0x7ff
	s_branch .LBB3_218
.LBB3_217:                              ;   in Loop: Header=BB3_218 Depth=1
	s_or_b64 exec, exec, s[0:1]
	v_add_u32_e32 v0, s58, v0
	v_cmp_le_i32_e32 vcc, s20, v0
	s_or_b64 s[2:3], vcc, s[2:3]
	s_andn2_b64 exec, exec, s[2:3]
	s_cbranch_execz .LBB3_236
.LBB3_218:                              ; =>This Inner Loop Header: Depth=1
	v_ashrrev_i32_e32 v1, 31, v0
	v_lshl_add_u64 v[4:5], v[0:1], 2, s[6:7]
	global_load_dword v4, v[4:5], off
	s_mov_b64 s[8:9], -1
	s_and_b64 vcc, exec, s[4:5]
                                        ; implicit-def: $vgpr1
	s_waitcnt vmcnt(0)
	v_cmp_gt_f32_e64 s[0:1], 0, v4
	s_cbranch_vccz .LBB3_220
; %bb.219:                              ;   in Loop: Header=BB3_218 Depth=1
	s_nop 0
	v_cndmask_b32_e64 v1, v7, 0, s[0:1]
	v_bitop3_b32 v1, v1, s14, v4 bitop3:0x48
	s_mov_b64 s[8:9], 0
.LBB3_220:                              ;   in Loop: Header=BB3_218 Depth=1
	s_andn2_b64 vcc, exec, s[8:9]
	s_cbranch_vccnz .LBB3_222
; %bb.221:                              ;   in Loop: Header=BB3_218 Depth=1
	v_cndmask_b32_e64 v1, v8, 0, s[0:1]
	v_bitop3_b32 v1, v1, v4, s15 bitop3:0x78
.LBB3_222:                              ;   in Loop: Header=BB3_218 Depth=1
	s_waitcnt lgkmcnt(0)
	v_cmp_ge_u32_e32 vcc, v1, v3
	s_mov_b64 s[8:9], 0
                                        ; implicit-def: $vgpr4
	s_and_saveexec_b64 s[0:1], vcc
	s_xor_b64 s[0:1], exec, s[0:1]
	s_cbranch_execnz .LBB3_225
; %bb.223:                              ;   in Loop: Header=BB3_218 Depth=1
	s_andn2_saveexec_b64 s[0:1], s[0:1]
	s_cbranch_execnz .LBB3_232
.LBB3_224:                              ;   in Loop: Header=BB3_218 Depth=1
	s_or_b64 exec, exec, s[0:1]
	s_and_saveexec_b64 s[0:1], s[8:9]
	s_cbranch_execz .LBB3_217
	s_branch .LBB3_235
.LBB3_225:                              ;   in Loop: Header=BB3_218 Depth=1
	v_cmp_eq_u32_e32 vcc, v1, v3
	s_mov_b64 s[10:11], 0
                                        ; implicit-def: $vgpr4
	s_and_saveexec_b64 s[8:9], vcc
	s_cbranch_execz .LBB3_231
; %bb.226:                              ;   in Loop: Header=BB3_218 Depth=1
	s_mov_b64 s[12:13], exec
	v_mbcnt_lo_u32_b32 v1, s12, 0
	v_mbcnt_hi_u32_b32 v1, s13, v1
	v_cmp_eq_u32_e32 vcc, 0, v1
                                        ; implicit-def: $vgpr4
	s_and_saveexec_b64 s[10:11], vcc
; %bb.227:                              ;   in Loop: Header=BB3_218 Depth=1
	s_bcnt1_i32_b64 s12, s[12:13]
	v_mov_b32_e32 v4, s12
	ds_add_rtn_u32 v4, v6, v4 offset:512
; %bb.228:                              ;   in Loop: Header=BB3_218 Depth=1
	s_or_b64 exec, exec, s[10:11]
	s_waitcnt lgkmcnt(0)
	v_readfirstlane_b32 s10, v4
                                        ; implicit-def: $vgpr4
	s_nop 1
	v_add_u32_e32 v1, s10, v1
	v_cmp_lt_i32_e32 vcc, v1, v2
	s_mov_b64 s[10:11], 0
	s_and_saveexec_b64 s[12:13], vcc
	s_xor_b64 s[12:13], exec, s[12:13]
; %bb.229:                              ;   in Loop: Header=BB3_218 Depth=1
	s_mov_b64 s[10:11], exec
	v_xad_u32 v4, v1, -1, s33
; %bb.230:                              ;   in Loop: Header=BB3_218 Depth=1
	s_or_b64 exec, exec, s[12:13]
	s_and_b64 s[10:11], s[10:11], exec
.LBB3_231:                              ;   in Loop: Header=BB3_218 Depth=1
	s_or_b64 exec, exec, s[8:9]
	s_and_b64 s[8:9], s[10:11], exec
	s_andn2_saveexec_b64 s[0:1], s[0:1]
	s_cbranch_execz .LBB3_224
.LBB3_232:                              ;   in Loop: Header=BB3_218 Depth=1
	s_mov_b64 s[12:13], exec
	v_mbcnt_lo_u32_b32 v1, s12, 0
	v_mbcnt_hi_u32_b32 v1, s13, v1
	v_cmp_eq_u32_e32 vcc, 0, v1
                                        ; implicit-def: $vgpr4
	s_and_saveexec_b64 s[10:11], vcc
; %bb.233:                              ;   in Loop: Header=BB3_218 Depth=1
	s_bcnt1_i32_b64 s12, s[12:13]
	v_mov_b32_e32 v4, s12
	ds_add_rtn_u32 v4, v6, v4 offset:384
; %bb.234:                              ;   in Loop: Header=BB3_218 Depth=1
	s_or_b64 exec, exec, s[10:11]
	s_waitcnt lgkmcnt(0)
	v_readfirstlane_b32 s10, v4
	s_or_b64 s[8:9], s[8:9], exec
	s_nop 0
	v_add_u32_e32 v4, s10, v1
	s_or_b64 exec, exec, s[0:1]
	s_and_saveexec_b64 s[0:1], s[8:9]
	s_cbranch_execz .LBB3_217
.LBB3_235:                              ;   in Loop: Header=BB3_218 Depth=1
	v_ashrrev_i32_e32 v5, 31, v4
	v_lshl_add_u64 v[4:5], v[4:5], 2, s[22:23]
	global_store_dword v[4:5], v0, off
	s_branch .LBB3_217
.LBB3_236:
	s_endpgm
	.section	.rodata,"a",@progbits
	.p2align	6, 0x0
	.amdhsa_kernel _Z27radix_topk_one_block_kernelIfiLi11ELi1024ELb0ELb0EL5Phase0EEvPKT_PKT0_lS6_S6_S4_PS1_PS4_bPci
		.amdhsa_group_segment_fixed_size 25540
		.amdhsa_private_segment_fixed_size 0
		.amdhsa_kernarg_size 344
		.amdhsa_user_sgpr_count 2
		.amdhsa_user_sgpr_dispatch_ptr 0
		.amdhsa_user_sgpr_queue_ptr 0
		.amdhsa_user_sgpr_kernarg_segment_ptr 1
		.amdhsa_user_sgpr_dispatch_id 0
		.amdhsa_user_sgpr_kernarg_preload_length 0
		.amdhsa_user_sgpr_kernarg_preload_offset 0
		.amdhsa_user_sgpr_private_segment_size 0
		.amdhsa_uses_dynamic_stack 0
		.amdhsa_enable_private_segment 0
		.amdhsa_system_sgpr_workgroup_id_x 1
		.amdhsa_system_sgpr_workgroup_id_y 0
		.amdhsa_system_sgpr_workgroup_id_z 0
		.amdhsa_system_sgpr_workgroup_info 0
		.amdhsa_system_vgpr_workitem_id 0
		.amdhsa_next_free_vgpr 40
		.amdhsa_next_free_sgpr 71
		.amdhsa_accum_offset 40
		.amdhsa_reserve_vcc 1
		.amdhsa_float_round_mode_32 0
		.amdhsa_float_round_mode_16_64 0
		.amdhsa_float_denorm_mode_32 3
		.amdhsa_float_denorm_mode_16_64 3
		.amdhsa_dx10_clamp 1
		.amdhsa_ieee_mode 1
		.amdhsa_fp16_overflow 0
		.amdhsa_tg_split 0
		.amdhsa_exception_fp_ieee_invalid_op 0
		.amdhsa_exception_fp_denorm_src 0
		.amdhsa_exception_fp_ieee_div_zero 0
		.amdhsa_exception_fp_ieee_overflow 0
		.amdhsa_exception_fp_ieee_underflow 0
		.amdhsa_exception_fp_ieee_inexact 0
		.amdhsa_exception_int_div_zero 0
	.end_amdhsa_kernel
	.section	.text._Z27radix_topk_one_block_kernelIfiLi11ELi1024ELb0ELb0EL5Phase0EEvPKT_PKT0_lS6_S6_S4_PS1_PS4_bPci,"axG",@progbits,_Z27radix_topk_one_block_kernelIfiLi11ELi1024ELb0ELb0EL5Phase0EEvPKT_PKT0_lS6_S6_S4_PS1_PS4_bPci,comdat
.Lfunc_end3:
	.size	_Z27radix_topk_one_block_kernelIfiLi11ELi1024ELb0ELb0EL5Phase0EEvPKT_PKT0_lS6_S6_S4_PS1_PS4_bPci, .Lfunc_end3-_Z27radix_topk_one_block_kernelIfiLi11ELi1024ELb0ELb0EL5Phase0EEvPKT_PKT0_lS6_S6_S4_PS1_PS4_bPci
                                        ; -- End function
	.set _Z27radix_topk_one_block_kernelIfiLi11ELi1024ELb0ELb0EL5Phase0EEvPKT_PKT0_lS6_S6_S4_PS1_PS4_bPci.num_vgpr, 40
	.set _Z27radix_topk_one_block_kernelIfiLi11ELi1024ELb0ELb0EL5Phase0EEvPKT_PKT0_lS6_S6_S4_PS1_PS4_bPci.num_agpr, 0
	.set _Z27radix_topk_one_block_kernelIfiLi11ELi1024ELb0ELb0EL5Phase0EEvPKT_PKT0_lS6_S6_S4_PS1_PS4_bPci.numbered_sgpr, 71
	.set _Z27radix_topk_one_block_kernelIfiLi11ELi1024ELb0ELb0EL5Phase0EEvPKT_PKT0_lS6_S6_S4_PS1_PS4_bPci.num_named_barrier, 0
	.set _Z27radix_topk_one_block_kernelIfiLi11ELi1024ELb0ELb0EL5Phase0EEvPKT_PKT0_lS6_S6_S4_PS1_PS4_bPci.private_seg_size, 0
	.set _Z27radix_topk_one_block_kernelIfiLi11ELi1024ELb0ELb0EL5Phase0EEvPKT_PKT0_lS6_S6_S4_PS1_PS4_bPci.uses_vcc, 1
	.set _Z27radix_topk_one_block_kernelIfiLi11ELi1024ELb0ELb0EL5Phase0EEvPKT_PKT0_lS6_S6_S4_PS1_PS4_bPci.uses_flat_scratch, 0
	.set _Z27radix_topk_one_block_kernelIfiLi11ELi1024ELb0ELb0EL5Phase0EEvPKT_PKT0_lS6_S6_S4_PS1_PS4_bPci.has_dyn_sized_stack, 0
	.set _Z27radix_topk_one_block_kernelIfiLi11ELi1024ELb0ELb0EL5Phase0EEvPKT_PKT0_lS6_S6_S4_PS1_PS4_bPci.has_recursion, 0
	.set _Z27radix_topk_one_block_kernelIfiLi11ELi1024ELb0ELb0EL5Phase0EEvPKT_PKT0_lS6_S6_S4_PS1_PS4_bPci.has_indirect_call, 0
	.section	.AMDGPU.csdata,"",@progbits
; Kernel info:
; codeLenInByte = 7656
; TotalNumSgprs: 77
; NumVgprs: 40
; NumAgprs: 0
; TotalNumVgprs: 40
; ScratchSize: 0
; MemoryBound: 0
; FloatMode: 240
; IeeeMode: 1
; LDSByteSize: 25540 bytes/workgroup (compile time only)
; SGPRBlocks: 9
; VGPRBlocks: 4
; NumSGPRsForWavesPerEU: 77
; NumVGPRsForWavesPerEU: 40
; AccumOffset: 40
; Occupancy: 8
; WaveLimiterHint : 0
; COMPUTE_PGM_RSRC2:SCRATCH_EN: 0
; COMPUTE_PGM_RSRC2:USER_SGPR: 2
; COMPUTE_PGM_RSRC2:TRAP_HANDLER: 0
; COMPUTE_PGM_RSRC2:TGID_X_EN: 1
; COMPUTE_PGM_RSRC2:TGID_Y_EN: 0
; COMPUTE_PGM_RSRC2:TGID_Z_EN: 0
; COMPUTE_PGM_RSRC2:TIDIG_COMP_CNT: 0
; COMPUTE_PGM_RSRC3_GFX90A:ACCUM_OFFSET: 9
; COMPUTE_PGM_RSRC3_GFX90A:TG_SPLIT: 0
	.text
	.p2alignl 6, 3212836864
	.fill 256, 4, 3212836864
	.section	.AMDGPU.gpr_maximums,"",@progbits
	.set amdgpu.max_num_vgpr, 0
	.set amdgpu.max_num_agpr, 0
	.set amdgpu.max_num_sgpr, 0
	.text
	.type	__hip_cuid_5451f61d5fcfce4d,@object ; @__hip_cuid_5451f61d5fcfce4d
	.section	.bss,"aw",@nobits
	.globl	__hip_cuid_5451f61d5fcfce4d
__hip_cuid_5451f61d5fcfce4d:
	.byte	0                               ; 0x0
	.size	__hip_cuid_5451f61d5fcfce4d, 1

	.ident	"AMD clang version 22.0.0git (https://github.com/RadeonOpenCompute/llvm-project roc-7.2.4 26084 f58b06dce1f9c15707c5f808fd002e18c2accf7e)"
	.section	".note.GNU-stack","",@progbits
	.addrsig
	.addrsig_sym __hip_cuid_5451f61d5fcfce4d
	.amdgpu_metadata
---
amdhsa.kernels:
  - .agpr_count:     0
    .args:
      - .address_space:  global
        .offset:         0
        .size:           8
        .value_kind:     global_buffer
      - .offset:         8
        .size:           4
        .value_kind:     by_value
      - .offset:         12
        .size:           4
        .value_kind:     by_value
      - .offset:         16
        .size:           4
        .value_kind:     hidden_block_count_x
      - .offset:         20
        .size:           4
        .value_kind:     hidden_block_count_y
      - .offset:         24
        .size:           4
        .value_kind:     hidden_block_count_z
      - .offset:         28
        .size:           2
        .value_kind:     hidden_group_size_x
      - .offset:         30
        .size:           2
        .value_kind:     hidden_group_size_y
      - .offset:         32
        .size:           2
        .value_kind:     hidden_group_size_z
      - .offset:         34
        .size:           2
        .value_kind:     hidden_remainder_x
      - .offset:         36
        .size:           2
        .value_kind:     hidden_remainder_y
      - .offset:         38
        .size:           2
        .value_kind:     hidden_remainder_z
      - .offset:         56
        .size:           8
        .value_kind:     hidden_global_offset_x
      - .offset:         64
        .size:           8
        .value_kind:     hidden_global_offset_y
      - .offset:         72
        .size:           8
        .value_kind:     hidden_global_offset_z
      - .offset:         80
        .size:           2
        .value_kind:     hidden_grid_dims
    .group_segment_fixed_size: 0
    .kernarg_segment_align: 8
    .kernarg_segment_size: 272
    .language:       OpenCL C
    .language_version:
      - 2
      - 0
    .max_flat_workgroup_size: 1024
    .name:           _Z6init_xPfii
    .private_segment_fixed_size: 0
    .sgpr_count:     12
    .sgpr_spill_count: 0
    .symbol:         _Z6init_xPfii.kd
    .uniform_work_group_size: 1
    .uses_dynamic_stack: false
    .vgpr_count:     5
    .vgpr_spill_count: 0
    .wavefront_size: 64
  - .agpr_count:     0
    .args:
      - .address_space:  global
        .offset:         0
        .size:           8
        .value_kind:     global_buffer
      - .offset:         8
        .size:           4
        .value_kind:     by_value
      - .offset:         12
        .size:           4
        .value_kind:     by_value
      - .offset:         16
        .size:           4
        .value_kind:     by_value
    .group_segment_fixed_size: 0
    .kernarg_segment_align: 8
    .kernarg_segment_size: 20
    .language:       OpenCL C
    .language_version:
      - 2
      - 0
    .max_flat_workgroup_size: 1024
    .name:           _Z12shuffle_rowsPfiij
    .private_segment_fixed_size: 0
    .sgpr_count:     20
    .sgpr_spill_count: 0
    .symbol:         _Z12shuffle_rowsPfiij.kd
    .uniform_work_group_size: 1
    .uses_dynamic_stack: false
    .vgpr_count:     3
    .vgpr_spill_count: 0
    .wavefront_size: 64
  - .agpr_count:     0
    .args:
      - .address_space:  global
        .offset:         0
        .size:           8
        .value_kind:     global_buffer
      - .address_space:  global
        .offset:         8
        .size:           8
        .value_kind:     global_buffer
      - .offset:         16
        .size:           8
        .value_kind:     by_value
      - .address_space:  global
        .offset:         24
        .size:           8
        .value_kind:     global_buffer
      - .address_space:  global
        .offset:         32
        .size:           8
        .value_kind:     global_buffer
      - .offset:         40
        .size:           4
        .value_kind:     by_value
      - .address_space:  global
        .offset:         48
        .size:           8
        .value_kind:     global_buffer
      - .address_space:  global
        .offset:         56
        .size:           8
        .value_kind:     global_buffer
      - .offset:         64
        .size:           1
        .value_kind:     by_value
      - .address_space:  global
        .offset:         72
        .size:           8
        .value_kind:     global_buffer
      - .offset:         80
        .size:           4
        .value_kind:     by_value
      - .offset:         88
        .size:           4
        .value_kind:     hidden_block_count_x
      - .offset:         92
        .size:           4
        .value_kind:     hidden_block_count_y
      - .offset:         96
        .size:           4
        .value_kind:     hidden_block_count_z
      - .offset:         100
        .size:           2
        .value_kind:     hidden_group_size_x
      - .offset:         102
        .size:           2
        .value_kind:     hidden_group_size_y
      - .offset:         104
        .size:           2
        .value_kind:     hidden_group_size_z
      - .offset:         106
        .size:           2
        .value_kind:     hidden_remainder_x
      - .offset:         108
        .size:           2
        .value_kind:     hidden_remainder_y
      - .offset:         110
        .size:           2
        .value_kind:     hidden_remainder_z
      - .offset:         128
        .size:           8
        .value_kind:     hidden_global_offset_x
      - .offset:         136
        .size:           8
        .value_kind:     hidden_global_offset_y
      - .offset:         144
        .size:           8
        .value_kind:     hidden_global_offset_z
      - .offset:         152
        .size:           2
        .value_kind:     hidden_grid_dims
    .group_segment_fixed_size: 25540
    .kernarg_segment_align: 8
    .kernarg_segment_size: 344
    .language:       OpenCL C
    .language_version:
      - 2
      - 0
    .max_flat_workgroup_size: 1024
    .name:           _Z27radix_topk_one_block_kernelIfiLi11ELi1024ELb1ELb0EL5Phase0EEvPKT_PKT0_lS6_S6_S4_PS1_PS4_bPci
    .private_segment_fixed_size: 0
    .sgpr_count:     79
    .sgpr_spill_count: 0
    .symbol:         _Z27radix_topk_one_block_kernelIfiLi11ELi1024ELb1ELb0EL5Phase0EEvPKT_PKT0_lS6_S6_S4_PS1_PS4_bPci.kd
    .uniform_work_group_size: 1
    .uses_dynamic_stack: false
    .vgpr_count:     40
    .vgpr_spill_count: 0
    .wavefront_size: 64
  - .agpr_count:     0
    .args:
      - .address_space:  global
        .offset:         0
        .size:           8
        .value_kind:     global_buffer
      - .address_space:  global
        .offset:         8
        .size:           8
        .value_kind:     global_buffer
      - .offset:         16
        .size:           8
        .value_kind:     by_value
      - .address_space:  global
        .offset:         24
        .size:           8
        .value_kind:     global_buffer
      - .address_space:  global
        .offset:         32
        .size:           8
        .value_kind:     global_buffer
      - .offset:         40
        .size:           4
        .value_kind:     by_value
      - .address_space:  global
        .offset:         48
        .size:           8
        .value_kind:     global_buffer
      - .address_space:  global
        .offset:         56
        .size:           8
        .value_kind:     global_buffer
      - .offset:         64
        .size:           1
        .value_kind:     by_value
      - .address_space:  global
        .offset:         72
        .size:           8
        .value_kind:     global_buffer
      - .offset:         80
        .size:           4
        .value_kind:     by_value
      - .offset:         88
        .size:           4
        .value_kind:     hidden_block_count_x
      - .offset:         92
        .size:           4
        .value_kind:     hidden_block_count_y
      - .offset:         96
        .size:           4
        .value_kind:     hidden_block_count_z
      - .offset:         100
        .size:           2
        .value_kind:     hidden_group_size_x
      - .offset:         102
        .size:           2
        .value_kind:     hidden_group_size_y
      - .offset:         104
        .size:           2
        .value_kind:     hidden_group_size_z
      - .offset:         106
        .size:           2
        .value_kind:     hidden_remainder_x
      - .offset:         108
        .size:           2
        .value_kind:     hidden_remainder_y
      - .offset:         110
        .size:           2
        .value_kind:     hidden_remainder_z
      - .offset:         128
        .size:           8
        .value_kind:     hidden_global_offset_x
      - .offset:         136
        .size:           8
        .value_kind:     hidden_global_offset_y
      - .offset:         144
        .size:           8
        .value_kind:     hidden_global_offset_z
      - .offset:         152
        .size:           2
        .value_kind:     hidden_grid_dims
    .group_segment_fixed_size: 25540
    .kernarg_segment_align: 8
    .kernarg_segment_size: 344
    .language:       OpenCL C
    .language_version:
      - 2
      - 0
    .max_flat_workgroup_size: 1024
    .name:           _Z27radix_topk_one_block_kernelIfiLi11ELi1024ELb0ELb0EL5Phase0EEvPKT_PKT0_lS6_S6_S4_PS1_PS4_bPci
    .private_segment_fixed_size: 0
    .sgpr_count:     77
    .sgpr_spill_count: 0
    .symbol:         _Z27radix_topk_one_block_kernelIfiLi11ELi1024ELb0ELb0EL5Phase0EEvPKT_PKT0_lS6_S6_S4_PS1_PS4_bPci.kd
    .uniform_work_group_size: 1
    .uses_dynamic_stack: false
    .vgpr_count:     40
    .vgpr_spill_count: 0
    .wavefront_size: 64
amdhsa.target:   amdgcn-amd-amdhsa--gfx950
amdhsa.version:
  - 1
  - 2
...

	.end_amdgpu_metadata
